;; amdgpu-corpus repo=ROCm/rocFFT kind=compiled arch=gfx1030 opt=O3
	.text
	.amdgcn_target "amdgcn-amd-amdhsa--gfx1030"
	.amdhsa_code_object_version 6
	.protected	fft_rtc_back_len936_factors_2_2_13_2_3_3_wgs_234_tpt_78_halfLds_dp_ip_CI_sbrr_dirReg ; -- Begin function fft_rtc_back_len936_factors_2_2_13_2_3_3_wgs_234_tpt_78_halfLds_dp_ip_CI_sbrr_dirReg
	.globl	fft_rtc_back_len936_factors_2_2_13_2_3_3_wgs_234_tpt_78_halfLds_dp_ip_CI_sbrr_dirReg
	.p2align	8
	.type	fft_rtc_back_len936_factors_2_2_13_2_3_3_wgs_234_tpt_78_halfLds_dp_ip_CI_sbrr_dirReg,@function
fft_rtc_back_len936_factors_2_2_13_2_3_3_wgs_234_tpt_78_halfLds_dp_ip_CI_sbrr_dirReg: ; @fft_rtc_back_len936_factors_2_2_13_2_3_3_wgs_234_tpt_78_halfLds_dp_ip_CI_sbrr_dirReg
; %bb.0:
	s_clause 0x1
	s_load_dwordx2 s[14:15], s[4:5], 0x18
	s_load_dwordx4 s[8:11], s[4:5], 0x0
	v_mul_u32_u24_e32 v1, 0x349, v0
	v_mov_b32_e32 v3, 0
	s_load_dwordx2 s[12:13], s[4:5], 0x50
	s_waitcnt lgkmcnt(0)
	s_load_dwordx2 s[2:3], s[14:15], 0x0
	v_lshrrev_b32_e32 v1, 16, v1
	v_cmp_lt_u64_e64 s0, s[10:11], 2
	v_mad_u64_u32 v[48:49], null, s6, 3, v[1:2]
	v_mov_b32_e32 v49, v3
	v_mov_b32_e32 v1, 0
	;; [unrolled: 1-line block ×3, first 2 shown]
	s_and_b32 vcc_lo, exec_lo, s0
	v_mov_b32_e32 v7, v48
	v_mov_b32_e32 v8, v49
	s_cbranch_vccnz .LBB0_8
; %bb.1:
	s_load_dwordx2 s[0:1], s[4:5], 0x10
	v_mov_b32_e32 v1, 0
	v_mov_b32_e32 v5, v48
	s_add_u32 s6, s14, 8
	v_mov_b32_e32 v2, 0
	v_mov_b32_e32 v6, v49
	s_addc_u32 s7, s15, 0
	s_mov_b64 s[18:19], 1
	s_waitcnt lgkmcnt(0)
	s_add_u32 s16, s0, 8
	s_addc_u32 s17, s1, 0
.LBB0_2:                                ; =>This Inner Loop Header: Depth=1
	s_load_dwordx2 s[20:21], s[16:17], 0x0
                                        ; implicit-def: $vgpr7_vgpr8
	s_mov_b32 s0, exec_lo
	s_waitcnt lgkmcnt(0)
	v_or_b32_e32 v4, s21, v6
	v_cmpx_ne_u64_e32 0, v[3:4]
	s_xor_b32 s1, exec_lo, s0
	s_cbranch_execz .LBB0_4
; %bb.3:                                ;   in Loop: Header=BB0_2 Depth=1
	v_cvt_f32_u32_e32 v4, s20
	v_cvt_f32_u32_e32 v7, s21
	s_sub_u32 s0, 0, s20
	s_subb_u32 s22, 0, s21
	v_fmac_f32_e32 v4, 0x4f800000, v7
	v_rcp_f32_e32 v4, v4
	v_mul_f32_e32 v4, 0x5f7ffffc, v4
	v_mul_f32_e32 v7, 0x2f800000, v4
	v_trunc_f32_e32 v7, v7
	v_fmac_f32_e32 v4, 0xcf800000, v7
	v_cvt_u32_f32_e32 v7, v7
	v_cvt_u32_f32_e32 v4, v4
	v_mul_lo_u32 v8, s0, v7
	v_mul_hi_u32 v9, s0, v4
	v_mul_lo_u32 v10, s22, v4
	v_add_nc_u32_e32 v8, v9, v8
	v_mul_lo_u32 v9, s0, v4
	v_add_nc_u32_e32 v8, v8, v10
	v_mul_hi_u32 v10, v4, v9
	v_mul_lo_u32 v11, v4, v8
	v_mul_hi_u32 v12, v4, v8
	v_mul_hi_u32 v13, v7, v9
	v_mul_lo_u32 v9, v7, v9
	v_mul_hi_u32 v14, v7, v8
	v_mul_lo_u32 v8, v7, v8
	v_add_co_u32 v10, vcc_lo, v10, v11
	v_add_co_ci_u32_e32 v11, vcc_lo, 0, v12, vcc_lo
	v_add_co_u32 v9, vcc_lo, v10, v9
	v_add_co_ci_u32_e32 v9, vcc_lo, v11, v13, vcc_lo
	v_add_co_ci_u32_e32 v10, vcc_lo, 0, v14, vcc_lo
	v_add_co_u32 v8, vcc_lo, v9, v8
	v_add_co_ci_u32_e32 v9, vcc_lo, 0, v10, vcc_lo
	v_add_co_u32 v4, vcc_lo, v4, v8
	v_add_co_ci_u32_e32 v7, vcc_lo, v7, v9, vcc_lo
	v_mul_hi_u32 v8, s0, v4
	v_mul_lo_u32 v10, s22, v4
	v_mul_lo_u32 v9, s0, v7
	v_add_nc_u32_e32 v8, v8, v9
	v_mul_lo_u32 v9, s0, v4
	v_add_nc_u32_e32 v8, v8, v10
	v_mul_hi_u32 v10, v4, v9
	v_mul_lo_u32 v11, v4, v8
	v_mul_hi_u32 v12, v4, v8
	v_mul_hi_u32 v13, v7, v9
	v_mul_lo_u32 v9, v7, v9
	v_mul_hi_u32 v14, v7, v8
	v_mul_lo_u32 v8, v7, v8
	v_add_co_u32 v10, vcc_lo, v10, v11
	v_add_co_ci_u32_e32 v11, vcc_lo, 0, v12, vcc_lo
	v_add_co_u32 v9, vcc_lo, v10, v9
	v_add_co_ci_u32_e32 v9, vcc_lo, v11, v13, vcc_lo
	v_add_co_ci_u32_e32 v10, vcc_lo, 0, v14, vcc_lo
	v_add_co_u32 v8, vcc_lo, v9, v8
	v_add_co_ci_u32_e32 v9, vcc_lo, 0, v10, vcc_lo
	v_add_co_u32 v4, vcc_lo, v4, v8
	v_add_co_ci_u32_e32 v11, vcc_lo, v7, v9, vcc_lo
	v_mul_hi_u32 v13, v5, v4
	v_mad_u64_u32 v[9:10], null, v6, v4, 0
	v_mad_u64_u32 v[7:8], null, v5, v11, 0
	v_mad_u64_u32 v[11:12], null, v6, v11, 0
	v_add_co_u32 v4, vcc_lo, v13, v7
	v_add_co_ci_u32_e32 v7, vcc_lo, 0, v8, vcc_lo
	v_add_co_u32 v4, vcc_lo, v4, v9
	v_add_co_ci_u32_e32 v4, vcc_lo, v7, v10, vcc_lo
	v_add_co_ci_u32_e32 v7, vcc_lo, 0, v12, vcc_lo
	v_add_co_u32 v4, vcc_lo, v4, v11
	v_add_co_ci_u32_e32 v9, vcc_lo, 0, v7, vcc_lo
	v_mul_lo_u32 v10, s21, v4
	v_mad_u64_u32 v[7:8], null, s20, v4, 0
	v_mul_lo_u32 v11, s20, v9
	v_sub_co_u32 v7, vcc_lo, v5, v7
	v_add3_u32 v8, v8, v11, v10
	v_sub_nc_u32_e32 v10, v6, v8
	v_subrev_co_ci_u32_e64 v10, s0, s21, v10, vcc_lo
	v_add_co_u32 v11, s0, v4, 2
	v_add_co_ci_u32_e64 v12, s0, 0, v9, s0
	v_sub_co_u32 v13, s0, v7, s20
	v_sub_co_ci_u32_e32 v8, vcc_lo, v6, v8, vcc_lo
	v_subrev_co_ci_u32_e64 v10, s0, 0, v10, s0
	v_cmp_le_u32_e32 vcc_lo, s20, v13
	v_cmp_eq_u32_e64 s0, s21, v8
	v_cndmask_b32_e64 v13, 0, -1, vcc_lo
	v_cmp_le_u32_e32 vcc_lo, s21, v10
	v_cndmask_b32_e64 v14, 0, -1, vcc_lo
	v_cmp_le_u32_e32 vcc_lo, s20, v7
	;; [unrolled: 2-line block ×3, first 2 shown]
	v_cndmask_b32_e64 v15, 0, -1, vcc_lo
	v_cmp_eq_u32_e32 vcc_lo, s21, v10
	v_cndmask_b32_e64 v7, v15, v7, s0
	v_cndmask_b32_e32 v10, v14, v13, vcc_lo
	v_add_co_u32 v13, vcc_lo, v4, 1
	v_add_co_ci_u32_e32 v14, vcc_lo, 0, v9, vcc_lo
	v_cmp_ne_u32_e32 vcc_lo, 0, v10
	v_cndmask_b32_e32 v8, v14, v12, vcc_lo
	v_cndmask_b32_e32 v10, v13, v11, vcc_lo
	v_cmp_ne_u32_e32 vcc_lo, 0, v7
	v_cndmask_b32_e32 v8, v9, v8, vcc_lo
	v_cndmask_b32_e32 v7, v4, v10, vcc_lo
.LBB0_4:                                ;   in Loop: Header=BB0_2 Depth=1
	s_andn2_saveexec_b32 s0, s1
	s_cbranch_execz .LBB0_6
; %bb.5:                                ;   in Loop: Header=BB0_2 Depth=1
	v_cvt_f32_u32_e32 v4, s20
	s_sub_i32 s1, 0, s20
	v_rcp_iflag_f32_e32 v4, v4
	v_mul_f32_e32 v4, 0x4f7ffffe, v4
	v_cvt_u32_f32_e32 v4, v4
	v_mul_lo_u32 v7, s1, v4
	v_mul_hi_u32 v7, v4, v7
	v_add_nc_u32_e32 v4, v4, v7
	v_mul_hi_u32 v4, v5, v4
	v_mul_lo_u32 v7, v4, s20
	v_add_nc_u32_e32 v8, 1, v4
	v_sub_nc_u32_e32 v7, v5, v7
	v_subrev_nc_u32_e32 v9, s20, v7
	v_cmp_le_u32_e32 vcc_lo, s20, v7
	v_cndmask_b32_e32 v7, v7, v9, vcc_lo
	v_cndmask_b32_e32 v4, v4, v8, vcc_lo
	v_cmp_le_u32_e32 vcc_lo, s20, v7
	v_add_nc_u32_e32 v8, 1, v4
	v_cndmask_b32_e32 v7, v4, v8, vcc_lo
	v_mov_b32_e32 v8, v3
.LBB0_6:                                ;   in Loop: Header=BB0_2 Depth=1
	s_or_b32 exec_lo, exec_lo, s0
	s_load_dwordx2 s[0:1], s[6:7], 0x0
	v_mul_lo_u32 v4, v8, s20
	v_mul_lo_u32 v11, v7, s21
	v_mad_u64_u32 v[9:10], null, v7, s20, 0
	s_add_u32 s18, s18, 1
	s_addc_u32 s19, s19, 0
	s_add_u32 s6, s6, 8
	s_addc_u32 s7, s7, 0
	s_add_u32 s16, s16, 8
	s_addc_u32 s17, s17, 0
	v_add3_u32 v4, v10, v11, v4
	v_sub_co_u32 v5, vcc_lo, v5, v9
	v_sub_co_ci_u32_e32 v4, vcc_lo, v6, v4, vcc_lo
	s_waitcnt lgkmcnt(0)
	v_mul_lo_u32 v6, s1, v5
	v_mul_lo_u32 v4, s0, v4
	v_mad_u64_u32 v[1:2], null, s0, v5, v[1:2]
	v_cmp_ge_u64_e64 s0, s[18:19], s[10:11]
	s_and_b32 vcc_lo, exec_lo, s0
	v_add3_u32 v2, v6, v2, v4
	s_cbranch_vccnz .LBB0_8
; %bb.7:                                ;   in Loop: Header=BB0_2 Depth=1
	v_mov_b32_e32 v5, v7
	v_mov_b32_e32 v6, v8
	s_branch .LBB0_2
.LBB0_8:
	s_lshl_b64 s[0:1], s[10:11], 3
	v_mul_hi_u32 v3, 0x3483484, v0
	s_add_u32 s0, s14, s0
	s_addc_u32 s1, s15, s1
	s_load_dwordx2 s[4:5], s[4:5], 0x20
	s_load_dwordx2 s[0:1], s[0:1], 0x0
                                        ; implicit-def: $vgpr100
                                        ; implicit-def: $vgpr98
                                        ; implicit-def: $vgpr97
                                        ; implicit-def: $vgpr102
                                        ; implicit-def: $vgpr101
	v_mul_u32_u24_e32 v3, 0x4e, v3
	v_sub_nc_u32_e32 v84, v0, v3
	v_add_nc_u32_e32 v85, 0x4e, v84
	v_add_nc_u32_e32 v82, 0x9c, v84
	;; [unrolled: 1-line block ×5, first 2 shown]
	s_waitcnt lgkmcnt(0)
	v_cmp_gt_u64_e32 vcc_lo, s[4:5], v[7:8]
	v_mul_lo_u32 v3, s0, v8
	v_mul_lo_u32 v4, s1, v7
	v_mad_u64_u32 v[0:1], null, s0, v7, v[1:2]
	v_cmp_le_u64_e64 s0, s[4:5], v[7:8]
	v_add3_u32 v1, v4, v1, v3
	s_and_saveexec_b32 s1, s0
	s_xor_b32 s0, exec_lo, s1
; %bb.9:
	v_add_nc_u32_e32 v100, 0x4e, v84
	v_add_nc_u32_e32 v98, 0x9c, v84
	;; [unrolled: 1-line block ×5, first 2 shown]
; %bb.10:
	s_or_saveexec_b32 s1, s0
	v_lshlrev_b64 v[52:53], 4, v[0:1]
	v_add_nc_u32_e32 v89, 0x270, v84
	v_add_nc_u32_e32 v88, 0x2be, v84
                                        ; implicit-def: $vgpr46_vgpr47
                                        ; implicit-def: $vgpr34_vgpr35
                                        ; implicit-def: $vgpr38_vgpr39
                                        ; implicit-def: $vgpr26_vgpr27
                                        ; implicit-def: $vgpr42_vgpr43
                                        ; implicit-def: $vgpr30_vgpr31
                                        ; implicit-def: $vgpr22_vgpr23
                                        ; implicit-def: $vgpr18_vgpr19
                                        ; implicit-def: $vgpr10_vgpr11
                                        ; implicit-def: $vgpr2_vgpr3
                                        ; implicit-def: $vgpr14_vgpr15
                                        ; implicit-def: $vgpr6_vgpr7
	s_xor_b32 exec_lo, exec_lo, s1
	s_cbranch_execz .LBB0_12
; %bb.11:
	v_add_nc_u32_e32 v9, 0x1d4, v84
	v_mad_u64_u32 v[0:1], null, s2, v84, 0
	v_mad_u64_u32 v[4:5], null, s2, v85, 0
	;; [unrolled: 1-line block ×3, first 2 shown]
	v_add_nc_u32_e32 v12, 0x222, v84
	v_add_co_u32 v40, s0, s12, v52
	v_add_co_ci_u32_e64 v41, s0, s13, v53, s0
	v_mad_u64_u32 v[16:17], null, s2, v82, 0
	v_mad_u64_u32 v[6:7], null, s3, v84, v[1:2]
	v_mov_b32_e32 v1, v3
	v_mad_u64_u32 v[7:8], null, s2, v12, 0
	v_mov_b32_e32 v3, v5
	v_mad_u64_u32 v[18:19], null, s2, v89, 0
	v_mad_u64_u32 v[9:10], null, s3, v9, v[1:2]
	;; [unrolled: 1-line block ×3, first 2 shown]
	v_mov_b32_e32 v5, v8
	v_mov_b32_e32 v1, v6
	v_mad_u64_u32 v[24:25], null, s2, v83, 0
	v_mov_b32_e32 v3, v9
	v_mad_u64_u32 v[11:12], null, s3, v12, v[5:6]
	v_lshlrev_b64 v[0:1], 4, v[0:1]
	v_mov_b32_e32 v5, v10
	v_lshlrev_b64 v[2:3], 4, v[2:3]
	v_mad_u64_u32 v[26:27], null, s2, v88, 0
	v_add_nc_u32_e32 v36, 0x30c, v84
	v_add_co_u32 v0, s0, v40, v0
	v_lshlrev_b64 v[4:5], 4, v[4:5]
	v_mov_b32_e32 v8, v11
	v_add_co_ci_u32_e64 v1, s0, v41, v1, s0
	v_add_co_u32 v2, s0, v40, v2
	v_add_co_ci_u32_e64 v3, s0, v41, v3, s0
	v_lshlrev_b64 v[6:7], 4, v[7:8]
	v_mov_b32_e32 v8, v17
	v_add_co_u32 v9, s0, v40, v4
	v_add_co_ci_u32_e64 v10, s0, v41, v5, s0
	v_mad_u64_u32 v[28:29], null, s2, v87, 0
	v_mad_u64_u32 v[4:5], null, s3, v82, v[8:9]
	v_mov_b32_e32 v5, v19
	v_add_co_u32 v19, s0, v40, v6
	v_add_co_ci_u32_e64 v20, s0, v41, v7, s0
	v_mad_u64_u32 v[21:22], null, s3, v89, v[5:6]
	v_mov_b32_e32 v17, v4
	s_clause 0x3
	global_load_dwordx4 v[4:7], v[0:1], off
	global_load_dwordx4 v[12:15], v[2:3], off
	;; [unrolled: 1-line block ×4, first 2 shown]
	v_mov_b32_e32 v20, v25
	v_add_nc_u32_e32 v39, 0x35a, v84
	v_mov_b32_e32 v101, v86
	v_lshlrev_b64 v[16:17], 4, v[16:17]
	v_mov_b32_e32 v19, v21
	v_mad_u64_u32 v[20:21], null, s3, v83, v[20:21]
	v_mov_b32_e32 v21, v27
	v_mov_b32_e32 v27, v29
	v_lshlrev_b64 v[18:19], 4, v[18:19]
	v_add_co_u32 v16, s0, v40, v16
	v_add_co_ci_u32_e64 v17, s0, v41, v17, s0
	v_mad_u64_u32 v[33:34], null, s3, v87, v[27:28]
	v_add_co_u32 v22, s0, v40, v18
	v_mad_u64_u32 v[34:35], null, s2, v86, 0
	v_mov_b32_e32 v25, v20
	v_mad_u64_u32 v[30:31], null, s3, v88, v[21:22]
	v_mad_u64_u32 v[31:32], null, s2, v36, 0
	v_lshlrev_b64 v[24:25], 4, v[24:25]
	v_add_co_ci_u32_e64 v23, s0, v41, v19, s0
	s_clause 0x1
	global_load_dwordx4 v[16:19], v[16:17], off
	global_load_dwordx4 v[20:23], v[22:23], off
	v_mov_b32_e32 v29, v32
	v_mov_b32_e32 v27, v30
	v_add_co_u32 v24, s0, v40, v24
	v_add_co_ci_u32_e64 v25, s0, v41, v25, s0
	v_mad_u64_u32 v[36:37], null, s3, v36, v[29:30]
	v_mad_u64_u32 v[37:38], null, s2, v39, 0
	v_mov_b32_e32 v30, v35
	v_mov_b32_e32 v29, v33
	v_lshlrev_b64 v[26:27], 4, v[26:27]
	v_mov_b32_e32 v102, v87
	v_mov_b32_e32 v32, v36
	v_mad_u64_u32 v[35:36], null, s3, v86, v[30:31]
	v_mov_b32_e32 v33, v38
	v_lshlrev_b64 v[28:29], 4, v[28:29]
	v_add_co_u32 v26, s0, v40, v26
	v_lshlrev_b64 v[30:31], 4, v[31:32]
	v_mad_u64_u32 v[38:39], null, s3, v39, v[33:34]
	v_add_co_ci_u32_e64 v27, s0, v41, v27, s0
	v_add_co_u32 v32, s0, v40, v28
	v_add_co_ci_u32_e64 v33, s0, v41, v29, s0
	v_lshlrev_b64 v[28:29], 4, v[34:35]
	v_add_co_u32 v34, s0, v40, v30
	v_add_co_ci_u32_e64 v35, s0, v41, v31, s0
	v_lshlrev_b64 v[30:31], 4, v[37:38]
	v_add_co_u32 v44, s0, v40, v28
	v_add_co_ci_u32_e64 v45, s0, v41, v29, s0
	v_mov_b32_e32 v97, v83
	v_add_co_u32 v46, s0, v40, v30
	v_add_co_ci_u32_e64 v47, s0, v41, v31, s0
	s_clause 0x5
	global_load_dwordx4 v[28:31], v[24:25], off
	global_load_dwordx4 v[40:43], v[26:27], off
	;; [unrolled: 1-line block ×6, first 2 shown]
	v_mov_b32_e32 v98, v82
	v_mov_b32_e32 v100, v85
.LBB0_12:
	s_or_b32 exec_lo, exec_lo, s1
	v_mul_hi_u32 v51, 0xaaaaaaab, v48
	s_waitcnt vmcnt(8)
	v_add_f64 v[49:50], v[0:1], -v[8:9]
	v_add_f64 v[8:9], v[6:7], -v[14:15]
	v_add_f64 v[12:13], v[4:5], -v[12:13]
	v_add_f64 v[64:65], v[2:3], -v[10:11]
	s_waitcnt vmcnt(0)
	v_add_f64 v[79:80], v[34:35], -v[46:47]
	v_add_f64 v[56:57], v[16:17], -v[20:21]
	;; [unrolled: 1-line block ×3, first 2 shown]
	v_lshrrev_b32_e32 v14, 1, v51
	v_add_f64 v[68:69], v[30:31], -v[42:43]
	v_add_f64 v[40:41], v[28:29], -v[40:41]
	;; [unrolled: 1-line block ×4, first 2 shown]
	v_lshl_add_u32 v10, v14, 1, v14
	v_add_f64 v[44:45], v[32:33], -v[44:45]
	v_and_b32_e32 v107, 1, v84
	v_cmp_gt_u32_e64 s0, 0x48, v84
	v_sub_nc_u32_e32 v14, v48, v10
	v_fma_f64 v[47:48], v[0:1], 2.0, -v[49:50]
	v_mul_u32_u24_e32 v0, 0x3a8, v14
	v_fma_f64 v[10:11], v[4:5], 2.0, -v[12:13]
	v_fma_f64 v[6:7], v[6:7], 2.0, -v[8:9]
	;; [unrolled: 1-line block ×4, first 2 shown]
	v_lshlrev_b32_e32 v99, 3, v0
	v_fma_f64 v[18:19], v[18:19], 2.0, -v[20:21]
	v_fma_f64 v[54:55], v[16:17], 2.0, -v[56:57]
	v_lshlrev_b32_e32 v0, 3, v84
	v_fma_f64 v[66:67], v[30:31], 2.0, -v[68:69]
	v_add_nc_u32_e32 v81, 0, v99
	v_fma_f64 v[38:39], v[28:29], 2.0, -v[40:41]
	v_fma_f64 v[73:74], v[26:27], 2.0, -v[75:76]
	;; [unrolled: 1-line block ×4, first 2 shown]
	v_add3_u32 v90, 0, v0, v99
	v_lshl_add_u32 v5, v98, 4, v81
	v_add_nc_u32_e32 v91, v81, v0
	v_lshlrev_b32_e32 v0, 3, v98
	v_lshl_add_u32 v4, v100, 4, v81
	v_lshlrev_b32_e32 v2, 3, v100
	v_lshl_add_u32 v22, v101, 4, v81
	v_lshl_add_u32 v16, v97, 4, v81
	v_sub_nc_u32_e32 v93, v5, v0
	v_lshlrev_b32_e32 v0, 3, v101
	v_sub_nc_u32_e32 v92, v4, v2
	v_lshlrev_b32_e32 v2, 3, v97
	v_lshl_add_u32 v1, v84, 4, v81
	v_lshl_add_u32 v17, v102, 4, v81
	v_add_nc_u32_e32 v14, 0xc00, v90
	v_add_nc_u32_e32 v15, 0x1000, v90
	v_lshlrev_b32_e32 v3, 3, v102
	v_sub_nc_u32_e32 v95, v22, v0
	v_lshlrev_b32_e32 v0, 4, v107
	v_sub_nc_u32_e32 v96, v16, v2
	v_add_nc_u32_e32 v72, 0x1800, v90
	ds_write_b128 v1, v[10:13]
	ds_write_b128 v4, v[47:50]
	;; [unrolled: 1-line block ×6, first 2 shown]
	s_waitcnt lgkmcnt(0)
	s_barrier
	buffer_gl0_inv
	ds_read2_b64 v[24:27], v14 offset0:84 offset1:162
	ds_read2_b64 v[28:31], v15 offset0:112 offset1:190
	v_sub_nc_u32_e32 v94, v17, v3
	ds_read_b64 v[2:3], v91
	ds_read_b64 v[10:11], v92
	;; [unrolled: 1-line block ×4, first 2 shown]
	ds_read2_b64 v[32:35], v72 offset0:12 offset1:90
	ds_read_b64 v[103:104], v94
	ds_read_b64 v[105:106], v95
	s_waitcnt lgkmcnt(0)
	s_barrier
	buffer_gl0_inv
	ds_write_b128 v1, v[6:9]
	ds_write_b128 v4, v[62:65]
	;; [unrolled: 1-line block ×6, first 2 shown]
	s_waitcnt lgkmcnt(0)
	s_barrier
	buffer_gl0_inv
	global_load_dwordx4 v[36:39], v0, s[8:9]
	ds_read2_b64 v[44:47], v14 offset0:84 offset1:162
	ds_read2_b64 v[40:43], v15 offset0:112 offset1:190
	;; [unrolled: 1-line block ×3, first 2 shown]
	v_lshlrev_b32_e32 v73, 1, v101
	v_lshlrev_b32_e32 v57, 1, v84
	;; [unrolled: 1-line block ×5, first 2 shown]
	v_and_or_b32 v79, 0x7fc, v73, v107
	v_and_or_b32 v74, 0xfc, v57, v107
	;; [unrolled: 1-line block ×5, first 2 shown]
	v_lshl_add_u32 v73, v74, 3, v81
	v_lshl_add_u32 v74, v75, 3, v81
	;; [unrolled: 1-line block ×5, first 2 shown]
	s_waitcnt vmcnt(0) lgkmcnt(2)
	v_mul_f64 v[0:1], v[44:45], v[38:39]
	v_mul_f64 v[4:5], v[46:47], v[38:39]
	s_waitcnt lgkmcnt(1)
	v_mul_f64 v[6:7], v[40:41], v[38:39]
	v_mul_f64 v[8:9], v[42:43], v[38:39]
	s_waitcnt lgkmcnt(0)
	v_mul_f64 v[12:13], v[48:49], v[38:39]
	v_mul_f64 v[16:17], v[50:51], v[38:39]
	v_fma_f64 v[0:1], v[24:25], v[36:37], v[0:1]
	v_fma_f64 v[4:5], v[26:27], v[36:37], v[4:5]
	;; [unrolled: 1-line block ×6, first 2 shown]
	v_add_f64 v[20:21], v[2:3], -v[0:1]
	v_add_f64 v[16:17], v[10:11], -v[4:5]
	;; [unrolled: 1-line block ×6, first 2 shown]
	v_lshlrev_b32_e32 v6, 1, v102
	v_and_or_b32 v77, 0x3fc, v6, v107
	v_lshl_add_u32 v77, v77, 3, v81
	v_fma_f64 v[58:59], v[2:3], 2.0, -v[20:21]
	v_fma_f64 v[22:23], v[10:11], 2.0, -v[16:17]
	;; [unrolled: 1-line block ×4, first 2 shown]
	ds_read_b64 v[60:61], v91
	ds_read_b64 v[62:63], v92
	;; [unrolled: 1-line block ×6, first 2 shown]
	v_fma_f64 v[6:7], v[103:104], 2.0, -v[8:9]
	v_fma_f64 v[10:11], v[105:106], 2.0, -v[12:13]
	s_waitcnt lgkmcnt(0)
	s_barrier
	buffer_gl0_inv
	ds_write2_b64 v73, v[58:59], v[20:21] offset1:2
	ds_write2_b64 v74, v[22:23], v[16:17] offset1:2
	;; [unrolled: 1-line block ×6, first 2 shown]
	s_waitcnt lgkmcnt(0)
	s_barrier
	buffer_gl0_inv
	s_and_saveexec_b32 s1, s0
	s_cbranch_execz .LBB0_14
; %bb.13:
	v_add_nc_u32_e32 v0, 0x400, v90
	v_add_nc_u32_e32 v1, 0x800, v90
	ds_read_b64 v[58:59], v91
	ds_read2_b64 v[20:23], v90 offset0:72 offset1:144
	ds_read2_b64 v[16:19], v0 offset0:88 offset1:160
	ds_read2_b64 v[0:3], v1 offset0:104 offset1:176
	ds_read2_b64 v[4:7], v14 offset0:120 offset1:192
	ds_read2_b64 v[8:11], v15 offset0:136 offset1:208
	ds_read2_b64 v[12:15], v72 offset0:24 offset1:96
.LBB0_14:
	s_or_b32 exec_lo, exec_lo, s1
	v_mul_f64 v[24:25], v[24:25], v[38:39]
	v_mul_f64 v[26:27], v[26:27], v[38:39]
	;; [unrolled: 1-line block ×6, first 2 shown]
	s_waitcnt lgkmcnt(0)
	s_barrier
	buffer_gl0_inv
	v_fma_f64 v[24:25], v[44:45], v[36:37], -v[24:25]
	v_fma_f64 v[26:27], v[46:47], v[36:37], -v[26:27]
	;; [unrolled: 1-line block ×6, first 2 shown]
	v_add_f64 v[24:25], v[60:61], -v[24:25]
	v_add_f64 v[44:45], v[62:63], -v[26:27]
	;; [unrolled: 1-line block ×6, first 2 shown]
	v_fma_f64 v[48:49], v[60:61], 2.0, -v[24:25]
	v_fma_f64 v[26:27], v[62:63], 2.0, -v[44:45]
	;; [unrolled: 1-line block ×6, first 2 shown]
	ds_write2_b64 v73, v[48:49], v[24:25] offset1:2
	ds_write2_b64 v74, v[26:27], v[44:45] offset1:2
	;; [unrolled: 1-line block ×6, first 2 shown]
	s_waitcnt lgkmcnt(0)
	s_barrier
	buffer_gl0_inv
	s_and_saveexec_b32 s1, s0
	s_cbranch_execz .LBB0_16
; %bb.15:
	v_add_nc_u32_e32 v28, 0x400, v90
	v_add_nc_u32_e32 v29, 0x800, v90
	;; [unrolled: 1-line block ×5, first 2 shown]
	ds_read_b64 v[48:49], v91
	ds_read2_b64 v[24:27], v90 offset0:72 offset1:144
	ds_read2_b64 v[44:47], v28 offset0:88 offset1:160
	ds_read2_b64 v[40:43], v29 offset0:104 offset1:176
	ds_read2_b64 v[36:39], v30 offset0:120 offset1:192
	ds_read2_b64 v[32:35], v31 offset0:136 offset1:208
	ds_read2_b64 v[28:31], v50 offset0:24 offset1:96
.LBB0_16:
	s_or_b32 exec_lo, exec_lo, s1
	v_and_b32_e32 v103, 3, v84
	v_mul_u32_u24_e32 v50, 12, v103
	v_lshlrev_b32_e32 v50, 4, v50
	s_clause 0xb
	global_load_dwordx4 v[60:63], v50, s[8:9] offset:32
	global_load_dwordx4 v[64:67], v50, s[8:9] offset:48
	global_load_dwordx4 v[68:71], v50, s[8:9] offset:64
	global_load_dwordx4 v[74:77], v50, s[8:9] offset:80
	global_load_dwordx4 v[104:107], v50, s[8:9] offset:96
	global_load_dwordx4 v[108:111], v50, s[8:9] offset:112
	global_load_dwordx4 v[112:115], v50, s[8:9] offset:128
	global_load_dwordx4 v[116:119], v50, s[8:9] offset:144
	global_load_dwordx4 v[120:123], v50, s[8:9] offset:160
	global_load_dwordx4 v[124:127], v50, s[8:9] offset:176
	global_load_dwordx4 v[128:131], v50, s[8:9] offset:192
	global_load_dwordx4 v[132:135], v50, s[8:9] offset:208
	s_waitcnt vmcnt(0) lgkmcnt(0)
	s_barrier
	buffer_gl0_inv
	v_mul_f64 v[50:51], v[24:25], v[62:63]
	v_mul_f64 v[62:63], v[20:21], v[62:63]
	;; [unrolled: 1-line block ×24, first 2 shown]
	v_fma_f64 v[76:77], v[20:21], v[60:61], v[50:51]
	v_fma_f64 v[78:79], v[24:25], v[60:61], -v[62:63]
	v_fma_f64 v[70:71], v[22:23], v[64:65], v[72:73]
	v_fma_f64 v[72:73], v[26:27], v[64:65], -v[66:67]
	;; [unrolled: 2-line block ×12, first 2 shown]
	v_lshrrev_b32_e32 v106, 2, v84
	s_and_saveexec_b32 s1, s0
	s_cbranch_execz .LBB0_18
; %bb.17:
	v_add_f64 v[0:1], v[78:79], -v[12:13]
	v_add_f64 v[6:7], v[58:59], v[76:77]
	s_mov_b32 s20, 0x4bc48dbf
	s_mov_b32 s21, 0xbfcea1e5
	v_add_f64 v[30:31], v[72:73], -v[16:17]
	v_add_f64 v[32:33], v[76:77], v[80:81]
	s_mov_b32 s26, 0x24c2f84
	s_mov_b32 s14, 0x93053d00
	;; [unrolled: 1-line block ×6, first 2 shown]
	v_add_f64 v[104:105], v[50:51], -v[18:19]
	v_add_f64 v[107:108], v[70:71], v[74:75]
	s_mov_b32 s24, 0x66966769
	s_mov_b32 s10, 0xd0032e0c
	;; [unrolled: 1-line block ×3, first 2 shown]
	v_add_f64 v[4:5], v[26:27], -v[24:25]
	s_mov_b32 s25, 0x3fefc445
	v_add_f64 v[10:11], v[40:41], -v[22:23]
	v_add_f64 v[28:29], v[44:45], -v[20:21]
	s_mov_b32 s11, 0xbfe7f3cc
	v_mul_f64 v[34:35], v[0:1], s[20:21]
	v_add_f64 v[6:7], v[6:7], v[70:71]
	v_mul_f64 v[109:110], v[0:1], s[26:27]
	s_mov_b32 s19, 0x3fec55a7
	v_mul_f64 v[111:112], v[30:31], s[36:37]
	v_add_f64 v[36:37], v[66:67], v[68:69]
	v_mul_f64 v[125:126], v[30:31], s[24:25]
	s_mov_b32 s34, 0x2ef20147
	s_mov_b32 s22, 0x42a4c3d2
	;; [unrolled: 1-line block ×5, first 2 shown]
	v_mul_f64 v[121:122], v[104:105], s[26:27]
	s_mov_b32 s39, 0xbfefc445
	s_mov_b32 s28, s22
	s_mov_b32 s38, s24
	v_mul_f64 v[123:124], v[0:1], s[34:35]
	v_mul_f64 v[141:142], v[0:1], s[38:39]
	;; [unrolled: 1-line block ×3, first 2 shown]
	s_mov_b32 s16, 0xebaa3ed8
	s_mov_b32 s17, 0x3fbedb7d
	v_mul_f64 v[127:128], v[10:11], s[36:37]
	v_fma_f64 v[113:114], v[32:33], s[14:15], -v[34:35]
	v_add_f64 v[6:7], v[6:7], v[66:67]
	v_fma_f64 v[34:35], v[32:33], s[14:15], v[34:35]
	v_fma_f64 v[135:136], v[32:33], s[10:11], -v[109:110]
	v_fma_f64 v[137:138], v[107:108], s[18:19], -v[111:112]
	v_mul_f64 v[133:134], v[104:105], s[36:37]
	v_mul_f64 v[139:140], v[28:29], s[36:37]
	;; [unrolled: 1-line block ×3, first 2 shown]
	s_mov_b32 s37, 0xbfddbe06
	v_add_f64 v[14:15], v[64:65], v[38:39]
	v_mul_f64 v[119:120], v[28:29], s[22:23]
	v_mul_f64 v[131:132], v[104:105], s[28:29]
	v_fma_f64 v[111:112], v[107:108], s[18:19], v[111:112]
	v_fma_f64 v[163:164], v[107:108], s[16:17], -v[125:126]
	v_fma_f64 v[165:166], v[36:37], s[10:11], -v[121:122]
	v_mul_f64 v[0:1], v[0:1], s[36:37]
	s_mov_b32 s4, 0xb2365da1
	s_mov_b32 s6, 0x1ea71119
	;; [unrolled: 1-line block ×6, first 2 shown]
	v_add_f64 v[113:114], v[58:59], v[113:114]
	v_add_f64 v[6:7], v[6:7], v[64:65]
	;; [unrolled: 1-line block ×4, first 2 shown]
	v_mul_f64 v[147:148], v[30:31], s[40:41]
	v_mul_f64 v[149:150], v[30:31], s[20:21]
	v_mul_f64 v[151:152], v[30:31], s[34:35]
	v_fma_f64 v[109:110], v[32:33], s[10:11], v[109:110]
	v_fma_f64 v[171:172], v[32:33], s[16:17], -v[141:142]
	v_fma_f64 v[141:142], v[32:33], s[16:17], v[141:142]
	v_fma_f64 v[173:174], v[32:33], s[6:7], -v[145:146]
	v_fma_f64 v[145:146], v[32:33], s[6:7], v[145:146]
	s_mov_b32 s31, 0x3fcea1e5
	s_mov_b32 s30, s20
	v_add_f64 v[8:9], v[60:61], v[62:63]
	v_mul_f64 v[117:118], v[10:11], s[34:35]
	v_mul_f64 v[129:130], v[28:29], s[30:31]
	;; [unrolled: 1-line block ×3, first 2 shown]
	v_fma_f64 v[167:168], v[14:15], s[6:7], -v[119:120]
	v_fma_f64 v[121:122], v[36:37], s[10:11], v[121:122]
	v_fma_f64 v[169:170], v[36:37], s[6:7], -v[131:132]
	s_mov_b32 s43, 0x3fedeba7
	v_add_f64 v[113:114], v[137:138], v[113:114]
	v_add_f64 v[6:7], v[6:7], v[60:61]
	v_fma_f64 v[137:138], v[32:33], s[4:5], -v[123:124]
	v_fma_f64 v[123:124], v[32:33], s[4:5], v[123:124]
	v_add_f64 v[34:35], v[111:112], v[34:35]
	v_add_f64 v[111:112], v[163:164], v[135:136]
	v_fma_f64 v[163:164], v[32:33], s[18:19], v[0:1]
	v_fma_f64 v[0:1], v[32:33], s[18:19], -v[0:1]
	s_mov_b32 s42, s34
	v_mul_f64 v[161:162], v[104:105], s[20:21]
	v_mul_f64 v[157:158], v[104:105], s[42:43]
	v_fma_f64 v[125:126], v[107:108], s[16:17], v[125:126]
	v_fma_f64 v[175:176], v[107:108], s[10:11], -v[147:148]
	v_fma_f64 v[147:148], v[107:108], s[10:11], v[147:148]
	v_fma_f64 v[177:178], v[107:108], s[14:15], -v[149:150]
	v_fma_f64 v[149:150], v[107:108], s[14:15], v[149:150]
	v_fma_f64 v[135:136], v[107:108], s[4:5], v[151:152]
	v_add_f64 v[32:33], v[58:59], v[109:110]
	v_add_f64 v[141:142], v[58:59], v[141:142]
	;; [unrolled: 1-line block ×3, first 2 shown]
	v_fma_f64 v[179:180], v[107:108], s[4:5], -v[151:152]
	v_add_f64 v[171:172], v[58:59], v[171:172]
	v_add_f64 v[113:114], v[165:166], v[113:114]
	;; [unrolled: 1-line block ×6, first 2 shown]
	v_mul_f64 v[104:105], v[104:105], s[38:39]
	v_fma_f64 v[151:152], v[107:108], s[6:7], -v[30:31]
	v_fma_f64 v[30:31], v[107:108], s[6:7], v[30:31]
	v_fma_f64 v[107:108], v[14:15], s[6:7], v[119:120]
	v_fma_f64 v[119:120], v[14:15], s[14:15], -v[129:130]
	v_fma_f64 v[137:138], v[8:9], s[4:5], -v[117:118]
	v_add_f64 v[34:35], v[121:122], v[34:35]
	v_add_f64 v[111:112], v[169:170], v[111:112]
	;; [unrolled: 1-line block ×4, first 2 shown]
	v_mul_f64 v[155:156], v[28:29], s[38:39]
	v_mul_f64 v[159:160], v[28:29], s[40:41]
	v_fma_f64 v[131:132], v[36:37], s[6:7], v[131:132]
	v_fma_f64 v[121:122], v[36:37], s[18:19], -v[133:134]
	v_add_f64 v[32:33], v[125:126], v[32:33]
	v_fma_f64 v[58:59], v[36:37], s[18:19], v[133:134]
	v_add_f64 v[141:142], v[149:150], v[141:142]
	v_add_f64 v[113:114], v[167:168], v[113:114]
	v_add_f64 v[6:7], v[6:7], v[42:43]
	v_add_f64 v[109:110], v[175:176], v[109:110]
	v_add_f64 v[123:124], v[147:148], v[123:124]
	v_fma_f64 v[147:148], v[36:37], s[4:5], v[157:158]
	v_fma_f64 v[149:150], v[36:37], s[14:15], v[161:162]
	v_add_f64 v[135:136], v[135:136], v[145:146]
	v_fma_f64 v[133:134], v[36:37], s[4:5], -v[157:158]
	v_add_f64 v[157:158], v[177:178], v[171:172]
	v_fma_f64 v[167:168], v[36:37], s[14:15], -v[161:162]
	v_add_f64 v[161:162], v[179:180], v[173:174]
	v_mul_f64 v[28:29], v[28:29], s[34:35]
	v_add_f64 v[34:35], v[107:108], v[34:35]
	v_add_f64 v[107:108], v[119:120], v[111:112]
	;; [unrolled: 1-line block ×4, first 2 shown]
	v_fma_f64 v[129:130], v[14:15], s[14:15], v[129:130]
	v_fma_f64 v[119:120], v[14:15], s[16:17], -v[155:156]
	v_fma_f64 v[151:152], v[14:15], s[10:11], v[159:160]
	v_add_f64 v[32:33], v[131:132], v[32:33]
	v_fma_f64 v[131:132], v[14:15], s[18:19], -v[139:140]
	v_fma_f64 v[145:146], v[14:15], s[10:11], -v[159:160]
	v_add_f64 v[111:112], v[137:138], v[113:114]
	v_fma_f64 v[113:114], v[36:37], s[16:17], -v[104:105]
	v_fma_f64 v[36:37], v[36:37], s[16:17], v[104:105]
	v_add_f64 v[6:7], v[6:7], v[62:63]
	v_mul_f64 v[104:105], v[10:11], s[30:31]
	v_add_f64 v[109:110], v[121:122], v[109:110]
	v_fma_f64 v[121:122], v[14:15], s[16:17], v[155:156]
	v_add_f64 v[58:59], v[58:59], v[123:124]
	v_mul_f64 v[123:124], v[10:11], s[28:29]
	v_fma_f64 v[137:138], v[14:15], s[18:19], v[139:140]
	v_add_f64 v[139:140], v[147:148], v[141:142]
	v_mul_f64 v[141:142], v[10:11], s[24:25]
	v_add_f64 v[135:136], v[149:150], v[135:136]
	v_add_f64 v[133:134], v[133:134], v[157:158]
	;; [unrolled: 1-line block ×3, first 2 shown]
	v_mul_f64 v[10:11], v[10:11], s[26:27]
	v_fma_f64 v[149:150], v[14:15], s[4:5], -v[28:29]
	v_fma_f64 v[14:15], v[14:15], s[4:5], v[28:29]
	v_add_f64 v[2:3], v[46:47], v[42:43]
	v_mul_f64 v[115:116], v[4:5], s[24:25]
	v_mul_f64 v[153:154], v[4:5], s[34:35]
	v_fma_f64 v[117:118], v[8:9], s[4:5], v[117:118]
	v_fma_f64 v[125:126], v[8:9], s[18:19], -v[127:128]
	v_add_f64 v[0:1], v[113:114], v[0:1]
	v_add_f64 v[28:29], v[36:37], v[30:31]
	;; [unrolled: 1-line block ×3, first 2 shown]
	v_fma_f64 v[30:31], v[8:9], s[18:19], v[127:128]
	v_add_f64 v[32:33], v[129:130], v[32:33]
	v_mul_f64 v[36:37], v[4:5], s[22:23]
	v_fma_f64 v[113:114], v[8:9], s[14:15], -v[104:105]
	v_add_f64 v[109:110], v[119:120], v[109:110]
	v_fma_f64 v[104:105], v[8:9], s[14:15], v[104:105]
	v_add_f64 v[58:59], v[121:122], v[58:59]
	v_mul_f64 v[119:120], v[4:5], s[26:27]
	v_fma_f64 v[121:122], v[8:9], s[6:7], -v[123:124]
	v_fma_f64 v[123:124], v[8:9], s[6:7], v[123:124]
	v_add_f64 v[129:130], v[137:138], v[139:140]
	v_fma_f64 v[137:138], v[8:9], s[16:17], v[141:142]
	v_add_f64 v[135:136], v[151:152], v[135:136]
	v_add_f64 v[127:128], v[131:132], v[133:134]
	v_fma_f64 v[131:132], v[8:9], s[16:17], -v[141:142]
	v_add_f64 v[133:134], v[145:146], v[147:148]
	v_mul_f64 v[4:5], v[4:5], s[20:21]
	v_fma_f64 v[139:140], v[8:9], s[10:11], -v[10:11]
	v_fma_f64 v[8:9], v[8:9], s[10:11], v[10:11]
	v_add_f64 v[0:1], v[149:150], v[0:1]
	v_add_f64 v[10:11], v[14:15], v[28:29]
	;; [unrolled: 1-line block ×3, first 2 shown]
	v_fma_f64 v[165:166], v[2:3], s[16:17], -v[115:116]
	v_fma_f64 v[115:116], v[2:3], s[16:17], v[115:116]
	v_add_f64 v[14:15], v[117:118], v[34:35]
	v_fma_f64 v[28:29], v[2:3], s[4:5], -v[153:154]
	v_add_f64 v[34:35], v[125:126], v[107:108]
	v_fma_f64 v[107:108], v[2:3], s[4:5], v[153:154]
	v_add_f64 v[30:31], v[30:31], v[32:33]
	v_fma_f64 v[32:33], v[2:3], s[6:7], -v[36:37]
	v_add_f64 v[109:110], v[113:114], v[109:110]
	v_add_f64 v[58:59], v[104:105], v[58:59]
	v_fma_f64 v[104:105], v[2:3], s[10:11], -v[119:120]
	v_fma_f64 v[117:118], v[2:3], s[10:11], v[119:120]
	v_add_f64 v[119:120], v[123:124], v[129:130]
	v_fma_f64 v[123:124], v[2:3], s[18:19], v[143:144]
	v_add_f64 v[125:126], v[137:138], v[135:136]
	;; [unrolled: 2-line block ×3, first 2 shown]
	v_fma_f64 v[121:122], v[2:3], s[18:19], -v[143:144]
	v_add_f64 v[127:128], v[131:132], v[133:134]
	v_fma_f64 v[129:130], v[2:3], s[14:15], -v[4:5]
	v_fma_f64 v[2:3], v[2:3], s[14:15], v[4:5]
	v_add_f64 v[4:5], v[8:9], v[10:11]
	v_add_f64 v[6:7], v[6:7], v[74:75]
	v_add_f64 v[0:1], v[139:140], v[0:1]
	v_add_f64 v[10:11], v[115:116], v[14:15]
	v_mul_u32_u24_e32 v131, 52, v106
	v_add_f64 v[14:15], v[28:29], v[34:35]
	v_add_f64 v[8:9], v[165:166], v[111:112]
	;; [unrolled: 1-line block ×12, first 2 shown]
	v_or_b32_e32 v6, v131, v103
	v_lshlrev_b32_e32 v6, 3, v6
	v_add3_u32 v6, 0, v6, v99
	ds_write2_b64 v6, v[34:35], v[32:33] offset0:8 offset1:12
	ds_write2_b64 v6, v[36:37], v[28:29] offset0:16 offset1:20
	;; [unrolled: 1-line block ×5, first 2 shown]
	ds_write2_b64 v6, v[4:5], v[2:3] offset1:4
	ds_write_b64 v6, v[0:1] offset:384
.LBB0_18:
	s_or_b32 exec_lo, exec_lo, s1
	v_add_nc_u32_e32 v59, 0xc00, v90
	v_add_nc_u32_e32 v104, 0x1000, v90
	;; [unrolled: 1-line block ×3, first 2 shown]
	s_waitcnt lgkmcnt(0)
	s_barrier
	buffer_gl0_inv
	ds_read2_b64 v[4:7], v59 offset0:84 offset1:162
	ds_read2_b64 v[0:3], v104 offset0:112 offset1:190
	ds_read_b64 v[14:15], v91
	ds_read_b64 v[28:29], v92
	;; [unrolled: 1-line block ×4, first 2 shown]
	ds_read2_b64 v[8:11], v105 offset0:12 offset1:90
	ds_read_b64 v[34:35], v94
	ds_read_b64 v[36:37], v95
	s_waitcnt lgkmcnt(0)
	s_barrier
	buffer_gl0_inv
	s_and_saveexec_b32 s33, s0
	s_cbranch_execz .LBB0_20
; %bb.19:
	v_add_f64 v[107:108], v[48:49], v[78:79]
	v_add_f64 v[76:77], v[76:77], -v[80:81]
	v_add_f64 v[42:43], v[46:47], -v[42:43]
	v_add_f64 v[78:79], v[78:79], v[12:13]
	v_add_f64 v[66:67], v[66:67], -v[68:69]
	v_add_f64 v[68:69], v[44:45], v[20:21]
	s_mov_b32 s34, 0xe00740e9
	s_mov_b32 s36, 0x1ea71119
	;; [unrolled: 1-line block ×12, first 2 shown]
	v_add_f64 v[70:71], v[70:71], -v[74:75]
	v_add_f64 v[74:75], v[50:51], v[18:19]
	v_add_f64 v[38:39], v[64:65], -v[38:39]
	v_add_f64 v[64:65], v[40:41], v[22:23]
	v_add_f64 v[80:81], v[107:108], v[72:73]
	;; [unrolled: 1-line block ×3, first 2 shown]
	s_mov_b32 s0, 0x4267c47c
	v_mul_f64 v[107:108], v[78:79], s[18:19]
	v_mul_f64 v[109:110], v[78:79], s[38:39]
	v_mul_f64 v[111:112], v[78:79], s[40:41]
	s_mov_b32 s6, 0x42a4c3d2
	s_mov_b32 s10, 0x66966769
	;; [unrolled: 1-line block ×16, first 2 shown]
	v_add_f64 v[46:47], v[80:81], v[50:51]
	v_mul_f64 v[50:51], v[78:79], s[34:35]
	v_mul_f64 v[80:81], v[78:79], s[36:37]
	;; [unrolled: 1-line block ×3, first 2 shown]
	s_mov_b32 s16, s10
	s_mov_b32 s20, s22
	;; [unrolled: 1-line block ×7, first 2 shown]
	v_mul_f64 v[113:114], v[72:73], s[36:37]
	v_mul_f64 v[115:116], v[72:73], s[38:39]
	v_mul_f64 v[117:118], v[72:73], s[42:43]
	v_fma_f64 v[163:164], v[76:77], s[10:11], v[107:108]
	v_mul_f64 v[119:120], v[72:73], s[40:41]
	v_mul_f64 v[121:122], v[72:73], s[18:19]
	v_fma_f64 v[107:108], v[76:77], s[16:17], v[107:108]
	v_fma_f64 v[165:166], v[76:77], s[22:23], v[109:110]
	;; [unrolled: 1-line block ×4, first 2 shown]
	v_add_f64 v[60:61], v[60:61], -v[62:63]
	v_add_f64 v[44:45], v[46:47], v[44:45]
	v_fma_f64 v[161:162], v[76:77], s[0:1], v[50:51]
	v_add_f64 v[62:63], v[26:27], v[24:25]
	v_mul_f64 v[72:73], v[72:73], s[34:35]
	v_fma_f64 v[111:112], v[76:77], s[24:25], v[111:112]
	v_fma_f64 v[169:170], v[76:77], s[30:31], v[78:79]
	v_mul_f64 v[123:124], v[74:75], s[18:19]
	v_mul_f64 v[125:126], v[74:75], s[42:43]
	v_mul_f64 v[127:128], v[74:75], s[38:39]
	v_mul_f64 v[46:47], v[74:75], s[34:35]
	v_mul_f64 v[129:130], v[74:75], s[36:37]
	v_mul_f64 v[74:75], v[74:75], s[40:41]
	v_fma_f64 v[171:172], v[70:71], s[22:23], v[115:116]
	v_fma_f64 v[115:116], v[70:71], s[20:21], v[115:116]
	;; [unrolled: 1-line block ×3, first 2 shown]
	v_add_f64 v[163:164], v[48:49], v[163:164]
	v_fma_f64 v[117:118], v[70:71], s[28:29], v[117:118]
	v_fma_f64 v[175:176], v[70:71], s[24:25], v[119:120]
	;; [unrolled: 1-line block ×4, first 2 shown]
	v_add_f64 v[107:108], v[48:49], v[107:108]
	v_add_f64 v[165:166], v[48:49], v[165:166]
	;; [unrolled: 1-line block ×3, first 2 shown]
	v_fma_f64 v[44:45], v[76:77], s[4:5], v[50:51]
	v_fma_f64 v[50:51], v[76:77], s[6:7], v[80:81]
	v_fma_f64 v[80:81], v[76:77], s[14:15], v[80:81]
	v_fma_f64 v[76:77], v[76:77], s[28:29], v[78:79]
	v_fma_f64 v[78:79], v[70:71], s[6:7], v[113:114]
	v_add_f64 v[161:162], v[48:49], v[161:162]
	v_add_f64 v[109:110], v[48:49], v[109:110]
	;; [unrolled: 1-line block ×3, first 2 shown]
	v_fma_f64 v[113:114], v[70:71], s[14:15], v[113:114]
	v_fma_f64 v[121:122], v[70:71], s[10:11], v[121:122]
	v_add_f64 v[169:170], v[48:49], v[169:170]
	v_add_f64 v[111:112], v[48:49], v[111:112]
	v_mul_f64 v[131:132], v[68:69], s[38:39]
	v_mul_f64 v[133:134], v[68:69], s[40:41]
	;; [unrolled: 1-line block ×3, first 2 shown]
	v_fma_f64 v[179:180], v[66:67], s[30:31], v[125:126]
	v_fma_f64 v[125:126], v[66:67], s[28:29], v[125:126]
	;; [unrolled: 1-line block ×3, first 2 shown]
	v_mul_f64 v[137:138], v[68:69], s[18:19]
	v_mul_f64 v[139:140], v[68:69], s[42:43]
	v_fma_f64 v[183:184], v[66:67], s[4:5], v[46:47]
	v_add_f64 v[26:27], v[40:41], v[26:27]
	v_fma_f64 v[40:41], v[70:71], s[4:5], v[72:73]
	v_add_f64 v[50:51], v[48:49], v[50:51]
	v_add_f64 v[80:81], v[48:49], v[80:81]
	v_fma_f64 v[70:71], v[70:71], s[0:1], v[72:73]
	v_add_f64 v[76:77], v[48:49], v[76:77]
	;; [unrolled: 3-line block ×3, first 2 shown]
	v_add_f64 v[107:108], v[117:118], v[107:108]
	v_add_f64 v[117:118], v[175:176], v[165:166]
	;; [unrolled: 1-line block ×4, first 2 shown]
	v_mul_f64 v[68:69], v[68:69], s[36:37]
	v_fma_f64 v[123:124], v[66:67], s[16:17], v[123:124]
	v_fma_f64 v[127:128], v[66:67], s[22:23], v[127:128]
	;; [unrolled: 1-line block ×4, first 2 shown]
	v_add_f64 v[111:112], v[121:122], v[111:112]
	v_mul_f64 v[143:144], v[64:65], s[18:19]
	v_mul_f64 v[145:146], v[64:65], s[36:37]
	v_fma_f64 v[48:49], v[38:39], s[20:21], v[131:132]
	v_add_f64 v[24:25], v[26:27], v[24:25]
	v_fma_f64 v[26:27], v[66:67], s[6:7], v[129:130]
	v_add_f64 v[50:51], v[171:172], v[50:51]
	v_add_f64 v[80:81], v[115:116], v[80:81]
	v_add_f64 v[115:116], v[173:174], v[163:164]
	v_fma_f64 v[129:130], v[66:67], s[14:15], v[129:130]
	v_fma_f64 v[66:67], v[66:67], s[24:25], v[74:75]
	v_add_f64 v[40:41], v[40:41], v[169:170]
	v_add_f64 v[70:71], v[70:71], v[76:77]
	;; [unrolled: 1-line block ×3, first 2 shown]
	v_fma_f64 v[74:75], v[38:39], s[22:23], v[131:132]
	v_fma_f64 v[131:132], v[38:39], s[24:25], v[133:134]
	;; [unrolled: 1-line block ×4, first 2 shown]
	v_add_f64 v[72:73], v[72:73], v[78:79]
	v_mul_f64 v[141:142], v[64:65], s[40:41]
	v_mul_f64 v[147:148], v[64:65], s[42:43]
	;; [unrolled: 1-line block ×3, first 2 shown]
	v_fma_f64 v[76:77], v[38:39], s[10:11], v[137:138]
	v_mul_f64 v[64:65], v[64:65], s[38:39]
	v_fma_f64 v[121:122], v[38:39], s[16:17], v[137:138]
	v_fma_f64 v[137:138], v[38:39], s[30:31], v[139:140]
	v_add_f64 v[22:23], v[24:25], v[22:23]
	v_fma_f64 v[24:25], v[38:39], s[0:1], v[135:136]
	v_add_f64 v[50:51], v[179:180], v[50:51]
	v_add_f64 v[78:79], v[125:126], v[80:81]
	;; [unrolled: 1-line block ×3, first 2 shown]
	v_fma_f64 v[135:136], v[38:39], s[28:29], v[139:140]
	v_add_f64 v[115:116], v[183:184], v[117:118]
	v_add_f64 v[26:27], v[26:27], v[119:120]
	v_fma_f64 v[113:114], v[38:39], s[14:15], v[68:69]
	v_fma_f64 v[38:39], v[38:39], s[6:7], v[68:69]
	v_add_f64 v[40:41], v[185:186], v[40:41]
	v_add_f64 v[66:67], v[66:67], v[70:71]
	;; [unrolled: 1-line block ×6, first 2 shown]
	v_mul_f64 v[153:154], v[62:63], s[34:35]
	v_mul_f64 v[155:156], v[62:63], s[40:41]
	v_fma_f64 v[139:140], v[60:61], s[16:17], v[143:144]
	v_fma_f64 v[70:71], v[60:61], s[6:7], v[145:146]
	v_add_f64 v[72:73], v[74:75], v[72:73]
	v_mul_f64 v[151:152], v[62:63], s[42:43]
	v_add_f64 v[20:21], v[22:23], v[20:21]
	v_mul_f64 v[157:158], v[62:63], s[36:37]
	v_add_f64 v[50:51], v[131:132], v[50:51]
	v_add_f64 v[74:75], v[133:134], v[78:79]
	v_add_f64 v[78:79], v[187:188], v[80:81]
	v_mul_f64 v[159:160], v[62:63], s[38:39]
	v_fma_f64 v[68:69], v[60:61], s[26:27], v[141:142]
	v_fma_f64 v[117:118], v[60:61], s[28:29], v[147:148]
	;; [unrolled: 1-line block ×3, first 2 shown]
	v_add_f64 v[76:77], v[76:77], v[115:116]
	v_add_f64 v[26:27], v[135:136], v[26:27]
	v_fma_f64 v[127:128], v[60:61], s[22:23], v[64:65]
	v_fma_f64 v[64:65], v[60:61], s[20:21], v[64:65]
	v_add_f64 v[40:41], v[113:114], v[40:41]
	v_add_f64 v[38:39], v[38:39], v[66:67]
	v_fma_f64 v[22:23], v[60:61], s[10:11], v[143:144]
	v_fma_f64 v[119:120], v[60:61], s[30:31], v[147:148]
	v_fma_f64 v[125:126], v[60:61], s[0:1], v[149:150]
	v_add_f64 v[46:47], v[121:122], v[46:47]
	v_add_f64 v[80:81], v[137:138], v[109:110]
	v_fma_f64 v[111:112], v[60:61], s[14:15], v[145:146]
	v_add_f64 v[24:25], v[24:25], v[107:108]
	v_add_f64 v[18:19], v[20:21], v[18:19]
	v_mul_f64 v[20:21], v[62:63], s[18:19]
	v_fma_f64 v[60:61], v[60:61], s[24:25], v[141:142]
	v_add_f64 v[44:45], v[48:49], v[44:45]
	v_fma_f64 v[66:67], v[42:43], s[4:5], v[153:154]
	v_fma_f64 v[48:49], v[42:43], s[26:27], v[155:156]
	v_add_f64 v[50:51], v[139:140], v[50:51]
	v_add_f64 v[70:71], v[70:71], v[78:79]
	v_fma_f64 v[62:63], v[42:43], s[30:31], v[151:152]
	v_fma_f64 v[109:110], v[42:43], s[14:15], v[157:158]
	;; [unrolled: 1-line block ×3, first 2 shown]
	v_add_f64 v[68:69], v[68:69], v[72:73]
	v_add_f64 v[72:73], v[117:118], v[76:77]
	;; [unrolled: 1-line block ×5, first 2 shown]
	v_fma_f64 v[113:114], v[42:43], s[6:7], v[157:158]
	v_add_f64 v[22:23], v[22:23], v[74:75]
	v_add_f64 v[46:47], v[119:120], v[46:47]
	;; [unrolled: 1-line block ×3, first 2 shown]
	v_fma_f64 v[64:65], v[42:43], s[20:21], v[159:160]
	v_fma_f64 v[107:108], v[42:43], s[0:1], v[153:154]
	v_add_f64 v[16:17], v[18:19], v[16:17]
	v_fma_f64 v[18:19], v[42:43], s[16:17], v[20:21]
	v_fma_f64 v[20:21], v[42:43], s[10:11], v[20:21]
	v_add_f64 v[24:25], v[111:112], v[24:25]
	;; [unrolled: 3-line block ×3, first 2 shown]
	v_add_f64 v[50:51], v[66:67], v[50:51]
	v_add_f64 v[48:49], v[48:49], v[70:71]
	v_mul_u32_u24_e32 v58, 52, v106
	v_add_f64 v[60:61], v[62:63], v[68:69]
	v_add_f64 v[62:63], v[109:110], v[72:73]
	;; [unrolled: 1-line block ×10, first 2 shown]
	v_or_b32_e32 v40, v58, v103
	v_add_f64 v[16:17], v[42:43], v[44:45]
	v_lshlrev_b32_e32 v40, 3, v40
	v_add3_u32 v40, 0, v40, v99
	ds_write2_b64 v40, v[50:51], v[48:49] offset0:8 offset1:12
	ds_write2_b64 v40, v[62:63], v[26:27] offset0:16 offset1:20
	;; [unrolled: 1-line block ×5, first 2 shown]
	ds_write2_b64 v40, v[12:13], v[60:61] offset1:4
	ds_write_b64 v40, v[16:17] offset:384
.LBB0_20:
	s_or_b32 exec_lo, exec_lo, s33
	v_and_b32_e32 v16, 0xff, v100
	v_and_b32_e32 v19, 0xff, v98
	v_mov_b32_e32 v20, 0x4ec5
	v_subrev_nc_u32_e32 v12, 52, v84
	v_cmp_gt_u32_e64 s0, 52, v84
	v_mul_lo_u16 v18, 0x4f, v16
	v_mul_lo_u16 v115, 0x4f, v19
	v_mul_u32_u24_sdwa v116, v97, v20 dst_sel:DWORD dst_unused:UNUSED_PAD src0_sel:WORD_0 src1_sel:DWORD
	v_mul_u32_u24_sdwa v19, v101, v20 dst_sel:DWORD dst_unused:UNUSED_PAD src0_sel:WORD_0 src1_sel:DWORD
	v_mov_b32_e32 v13, 0
	v_lshrrev_b16 v114, 12, v18
	v_mul_u32_u24_sdwa v18, v102, v20 dst_sel:DWORD dst_unused:UNUSED_PAD src0_sel:WORD_0 src1_sel:DWORD
	v_cndmask_b32_e64 v12, v12, v84, s0
	v_lshrrev_b16 v117, 12, v115
	v_lshrrev_b32_e32 v118, 20, v116
	v_mul_lo_u16 v20, v114, 52
	v_lshrrev_b32_e32 v119, 20, v18
	v_lshrrev_b32_e32 v120, 20, v19
	v_lshlrev_b64 v[16:17], 4, v[12:13]
	v_mul_lo_u16 v18, v117, 52
	v_mul_lo_u16 v19, v118, 52
	v_sub_nc_u16 v121, v100, v20
	v_mul_lo_u16 v20, v119, 52
	v_mul_lo_u16 v21, v120, 52
	v_mov_b32_e32 v22, 4
	v_sub_nc_u16 v122, v98, v18
	v_add_co_u32 v16, s0, s8, v16
	v_sub_nc_u16 v123, v97, v19
	v_sub_nc_u16 v124, v102, v20
	;; [unrolled: 1-line block ×3, first 2 shown]
	v_add_co_ci_u32_e64 v17, s0, s9, v17, s0
	v_lshlrev_b32_sdwa v20, v22, v121 dst_sel:DWORD dst_unused:UNUSED_PAD src0_sel:DWORD src1_sel:BYTE_0
	v_lshlrev_b32_sdwa v24, v22, v122 dst_sel:DWORD dst_unused:UNUSED_PAD src0_sel:DWORD src1_sel:BYTE_0
	v_lshlrev_b32_sdwa v38, v22, v123 dst_sel:DWORD dst_unused:UNUSED_PAD src0_sel:DWORD src1_sel:WORD_0
	v_lshlrev_b32_sdwa v42, v22, v124 dst_sel:DWORD dst_unused:UNUSED_PAD src0_sel:DWORD src1_sel:WORD_0
	;; [unrolled: 1-line block ×3, first 2 shown]
	s_waitcnt lgkmcnt(0)
	s_barrier
	buffer_gl0_inv
	s_clause 0x5
	global_load_dwordx4 v[16:19], v[16:17], off offset:800
	global_load_dwordx4 v[20:23], v20, s[8:9] offset:800
	global_load_dwordx4 v[24:27], v24, s[8:9] offset:800
	;; [unrolled: 1-line block ×5, first 2 shown]
	ds_read2_b64 v[60:63], v59 offset0:84 offset1:162
	ds_read2_b64 v[64:67], v104 offset0:112 offset1:190
	;; [unrolled: 1-line block ×3, first 2 shown]
	ds_read_b64 v[50:51], v91
	ds_read_b64 v[72:73], v92
	;; [unrolled: 1-line block ×4, first 2 shown]
	v_cmp_lt_u32_e64 s0, 51, v84
	v_subrev_nc_u32_e32 v101, 26, v84
	v_lshlrev_b32_e32 v130, 3, v12
	v_lshrrev_b16 v131, 13, v115
	ds_read_b64 v[78:79], v94
	ds_read_b64 v[80:81], v95
	v_cndmask_b32_e64 v58, 0, 0x340, s0
	v_cmp_gt_u32_e64 s0, 26, v84
	v_mov_b32_e32 v126, 3
	v_and_b32_e32 v117, 0xffff, v117
	v_mad_u32_u24 v118, 0x340, v118, 0
	v_add_nc_u32_e32 v128, 0, v58
	v_cndmask_b32_e64 v129, v101, v100, s0
	v_mov_b32_e32 v58, v13
	v_mad_u32_u24 v119, 0x340, v119, 0
	v_lshrrev_b32_e32 v116, 21, v116
	v_add3_u32 v128, v128, v130, v99
	v_and_b32_e32 v130, 0xffff, v114
	v_lshlrev_b64 v[57:58], 4, v[57:58]
	v_lshlrev_b32_e32 v12, 1, v129
	v_mov_b32_e32 v127, 5
	s_waitcnt vmcnt(0) lgkmcnt(0)
	s_barrier
	buffer_gl0_inv
	s_mov_b32 s4, 0xe8584caa
	s_mov_b32 s5, 0xbfebb67a
	;; [unrolled: 1-line block ×3, first 2 shown]
	v_mul_f64 v[100:101], v[60:61], v[18:19]
	v_mul_f64 v[18:19], v[4:5], v[18:19]
	;; [unrolled: 1-line block ×12, first 2 shown]
	v_add_co_u32 v26, s0, s8, v57
	v_add_co_ci_u32_e64 v27, s0, s9, v58, s0
	v_mad_u32_u24 v57, 0x340, v130, 0
	v_mad_u32_u24 v58, 0x340, v117, 0
	v_fma_f64 v[4:5], v[4:5], v[16:17], v[100:101]
	v_fma_f64 v[16:17], v[60:61], v[16:17], -v[18:19]
	v_fma_f64 v[6:7], v[6:7], v[20:21], v[102:103]
	v_fma_f64 v[18:19], v[62:63], v[20:21], -v[22:23]
	;; [unrolled: 2-line block ×6, first 2 shown]
	v_lshlrev_b32_sdwa v42, v126, v121 dst_sel:DWORD dst_unused:UNUSED_PAD src0_sel:DWORD src1_sel:BYTE_0
	v_lshlrev_b32_sdwa v43, v126, v122 dst_sel:DWORD dst_unused:UNUSED_PAD src0_sel:DWORD src1_sel:BYTE_0
	v_lshlrev_b32_sdwa v44, v126, v123 dst_sel:DWORD dst_unused:UNUSED_PAD src0_sel:DWORD src1_sel:WORD_0
	v_lshlrev_b32_sdwa v45, v126, v124 dst_sel:DWORD dst_unused:UNUSED_PAD src0_sel:DWORD src1_sel:WORD_0
	v_mad_u32_u24 v102, 0x340, v120, 0
	v_lshlrev_b32_sdwa v46, v126, v125 dst_sel:DWORD dst_unused:UNUSED_PAD src0_sel:DWORD src1_sel:WORD_0
	v_add3_u32 v61, v57, v42, v99
	v_add3_u32 v62, v58, v43, v99
	;; [unrolled: 1-line block ×4, first 2 shown]
	v_add_f64 v[4:5], v[14:15], -v[4:5]
	v_add_f64 v[16:17], v[50:51], -v[16:17]
	;; [unrolled: 1-line block ×12, first 2 shown]
	v_add3_u32 v65, v102, v46, v99
	v_lshlrev_b64 v[100:101], 4, v[12:13]
	v_mul_lo_u16 v12, 0x68, v131
	v_mul_lo_u16 v103, 0x68, v116
	v_and_b32_e32 v118, 0xffff, v131
	v_sub_nc_u16 v12, v98, v12
	v_add_co_u32 v40, s0, s8, v100
	v_fma_f64 v[14:15], v[14:15], 2.0, -v[4:5]
	v_fma_f64 v[42:43], v[50:51], 2.0, -v[16:17]
	v_fma_f64 v[28:29], v[28:29], 2.0, -v[6:7]
	v_fma_f64 v[44:45], v[72:73], 2.0, -v[18:19]
	v_fma_f64 v[30:31], v[30:31], 2.0, -v[0:1]
	v_fma_f64 v[46:47], v[74:75], 2.0, -v[20:21]
	v_fma_f64 v[32:33], v[32:33], 2.0, -v[2:3]
	v_fma_f64 v[48:49], v[76:77], 2.0, -v[22:23]
	v_fma_f64 v[34:35], v[34:35], 2.0, -v[8:9]
	v_fma_f64 v[50:51], v[78:79], 2.0, -v[24:25]
	v_fma_f64 v[36:37], v[36:37], 2.0, -v[10:11]
	v_fma_f64 v[57:58], v[80:81], 2.0, -v[38:39]
	v_sub_nc_u16 v116, v97, v103
	ds_write2_b64 v128, v[14:15], v[4:5] offset1:52
	ds_write2_b64 v61, v[28:29], v[6:7] offset1:52
	;; [unrolled: 1-line block ×6, first 2 shown]
	s_waitcnt lgkmcnt(0)
	s_barrier
	buffer_gl0_inv
	ds_read2_b64 v[0:3], v104 offset0:112 offset1:190
	ds_read_b64 v[68:69], v94
	ds_read_b64 v[70:71], v95
	ds_read2_b64 v[4:7], v59 offset0:84 offset1:162
	ds_read2_b64 v[8:11], v105 offset0:12 offset1:90
	ds_read_b64 v[72:73], v91
	ds_read_b64 v[74:75], v92
	;; [unrolled: 1-line block ×4, first 2 shown]
	s_waitcnt lgkmcnt(0)
	s_barrier
	buffer_gl0_inv
	ds_write2_b64 v128, v[42:43], v[16:17] offset1:52
	ds_write2_b64 v61, v[44:45], v[18:19] offset1:52
	;; [unrolled: 1-line block ×6, first 2 shown]
	s_waitcnt lgkmcnt(0)
	s_barrier
	buffer_gl0_inv
	s_clause 0x1
	global_load_dwordx4 v[14:17], v[26:27], off offset:1648
	global_load_dwordx4 v[18:21], v[26:27], off offset:1632
	v_add_co_ci_u32_e64 v41, s0, s9, v101, s0
	v_lshlrev_b32_sdwa v60, v127, v12 dst_sel:DWORD dst_unused:UNUSED_PAD src0_sel:DWORD src1_sel:BYTE_0
	v_lshlrev_b32_sdwa v44, v127, v116 dst_sel:DWORD dst_unused:UNUSED_PAD src0_sel:DWORD src1_sel:WORD_0
	s_clause 0x5
	global_load_dwordx4 v[22:25], v[40:41], off offset:1632
	global_load_dwordx4 v[28:31], v[40:41], off offset:1648
	global_load_dwordx4 v[32:35], v60, s[8:9] offset:1632
	global_load_dwordx4 v[36:39], v60, s[8:9] offset:1648
	;; [unrolled: 1-line block ×4, first 2 shown]
	ds_read_b64 v[57:58], v94
	ds_read2_b64 v[48:51], v104 offset0:112 offset1:190
	ds_read_b64 v[80:81], v95
	ds_read2_b64 v[60:63], v59 offset0:84 offset1:162
	ds_read2_b64 v[64:67], v105 offset0:12 offset1:90
	v_cmp_lt_u32_e64 s0, 25, v84
	v_lshlrev_b32_sdwa v12, v126, v12 dst_sel:DWORD dst_unused:UNUSED_PAD src0_sel:DWORD src1_sel:BYTE_0
	v_cndmask_b32_e64 v117, 0, 0x9c0, s0
	s_mov_b32 s0, s4
	s_waitcnt vmcnt(7) lgkmcnt(3)
	v_mul_f64 v[100:101], v[48:49], v[16:17]
	s_waitcnt vmcnt(6)
	v_mul_f64 v[97:98], v[57:58], v[20:21]
	s_waitcnt vmcnt(5) lgkmcnt(2)
	v_mul_f64 v[102:103], v[80:81], v[24:25]
	s_waitcnt vmcnt(4)
	v_mul_f64 v[106:107], v[50:51], v[30:31]
	s_waitcnt vmcnt(3) lgkmcnt(1)
	v_mul_f64 v[108:109], v[60:61], v[34:35]
	s_waitcnt vmcnt(2) lgkmcnt(0)
	v_mul_f64 v[110:111], v[64:65], v[38:39]
	s_waitcnt vmcnt(1)
	v_mul_f64 v[112:113], v[62:63], v[42:43]
	s_waitcnt vmcnt(0)
	v_mul_f64 v[114:115], v[66:67], v[46:47]
	v_mul_f64 v[20:21], v[68:69], v[20:21]
	v_mul_f64 v[16:17], v[0:1], v[16:17]
	v_mul_f64 v[24:25], v[70:71], v[24:25]
	v_mul_f64 v[30:31], v[2:3], v[30:31]
	v_mul_f64 v[34:35], v[4:5], v[34:35]
	v_mul_f64 v[38:39], v[8:9], v[38:39]
	v_mul_f64 v[42:43], v[6:7], v[42:43]
	v_mul_f64 v[46:47], v[10:11], v[46:47]
	v_fma_f64 v[0:1], v[0:1], v[14:15], v[100:101]
	v_fma_f64 v[68:69], v[68:69], v[18:19], v[97:98]
	;; [unrolled: 1-line block ×8, first 2 shown]
	v_fma_f64 v[18:19], v[57:58], v[18:19], -v[20:21]
	v_fma_f64 v[14:15], v[48:49], v[14:15], -v[16:17]
	;; [unrolled: 1-line block ×8, first 2 shown]
	v_add_nc_u32_e32 v97, 0, v117
	v_lshlrev_b32_e32 v98, 3, v129
	ds_read_b64 v[24:25], v91
	ds_read_b64 v[42:43], v92
	;; [unrolled: 1-line block ×4, first 2 shown]
	v_lshlrev_b32_sdwa v101, v126, v116 dst_sel:DWORD dst_unused:UNUSED_PAD src0_sel:DWORD src1_sel:WORD_0
	v_mad_u32_u24 v100, 0x9c0, v118, 0
	v_add3_u32 v102, v97, v98, v99
	v_add_f64 v[34:35], v[68:69], v[0:1]
	v_add_f64 v[48:49], v[72:73], v[68:69]
	;; [unrolled: 1-line block ×8, first 2 shown]
	v_add_f64 v[50:51], v[18:19], -v[14:15]
	v_add_f64 v[57:58], v[18:19], v[14:15]
	v_add_f64 v[60:61], v[16:17], v[20:21]
	v_add_f64 v[68:69], v[68:69], -v[0:1]
	v_add_f64 v[64:65], v[22:23], v[28:29]
	v_add_f64 v[70:71], v[70:71], -v[2:3]
	v_add_f64 v[80:81], v[30:31], v[32:33]
	s_waitcnt lgkmcnt(3)
	v_add_f64 v[18:19], v[24:25], v[18:19]
	v_add_f64 v[4:5], v[4:5], -v[8:9]
	v_add_f64 v[6:7], v[6:7], -v[10:11]
	v_add3_u32 v101, 0, v101, v99
	v_add3_u32 v12, v100, v12, v99
	s_waitcnt lgkmcnt(0)
	s_barrier
	v_fma_f64 v[34:35], v[34:35], -0.5, v[72:73]
	v_add_f64 v[72:73], v[16:17], -v[20:21]
	v_fma_f64 v[36:37], v[36:37], -0.5, v[74:75]
	v_add_f64 v[74:75], v[22:23], -v[28:29]
	;; [unrolled: 2-line block ×3, first 2 shown]
	v_fma_f64 v[40:41], v[40:41], -0.5, v[78:79]
	v_add_f64 v[16:17], v[42:43], v[16:17]
	v_add_f64 v[22:23], v[44:45], v[22:23]
	;; [unrolled: 1-line block ×3, first 2 shown]
	v_fma_f64 v[24:25], v[57:58], -0.5, v[24:25]
	v_add_f64 v[0:1], v[48:49], v[0:1]
	v_fma_f64 v[42:43], v[60:61], -0.5, v[42:43]
	v_fma_f64 v[44:45], v[64:65], -0.5, v[44:45]
	;; [unrolled: 1-line block ×3, first 2 shown]
	v_add_f64 v[2:3], v[62:63], v[2:3]
	v_add_f64 v[8:9], v[66:67], v[8:9]
	;; [unrolled: 1-line block ×3, first 2 shown]
	v_add_nc_u32_e32 v99, 0x1000, v101
	buffer_gl0_inv
	v_add_f64 v[62:63], v[18:19], v[14:15]
	v_fma_f64 v[48:49], v[50:51], s[4:5], v[34:35]
	v_fma_f64 v[34:35], v[50:51], s[0:1], v[34:35]
	;; [unrolled: 1-line block ×8, first 2 shown]
	v_add_f64 v[64:65], v[16:17], v[20:21]
	v_add_f64 v[28:29], v[22:23], v[28:29]
	;; [unrolled: 1-line block ×3, first 2 shown]
	v_fma_f64 v[32:33], v[68:69], s[0:1], v[24:25]
	v_fma_f64 v[66:67], v[68:69], s[4:5], v[24:25]
	;; [unrolled: 1-line block ×8, first 2 shown]
	ds_write2_b64 v90, v[0:1], v[48:49] offset1:104
	ds_write_b64 v90, v[34:35] offset:1664
	ds_write2_b64 v102, v[2:3], v[50:51] offset1:104
	ds_write_b64 v102, v[36:37] offset:1664
	;; [unrolled: 2-line block ×3, first 2 shown]
	ds_write2_b64 v99, v[10:11], v[60:61] offset0:112 offset1:216
	ds_write_b64 v101, v[40:41] offset:6656
	s_waitcnt lgkmcnt(0)
	s_barrier
	buffer_gl0_inv
	ds_read2_b64 v[4:7], v104 offset0:112 offset1:190
	ds_read_b64 v[24:25], v94
	ds_read_b64 v[22:23], v95
	ds_read2_b64 v[0:3], v59 offset0:84 offset1:162
	ds_read2_b64 v[8:11], v105 offset0:12 offset1:90
	ds_read_b64 v[18:19], v91
	ds_read_b64 v[16:17], v92
	;; [unrolled: 1-line block ×4, first 2 shown]
	s_waitcnt lgkmcnt(0)
	s_barrier
	buffer_gl0_inv
	ds_write2_b64 v90, v[62:63], v[32:33] offset1:104
	ds_write_b64 v90, v[66:67] offset:1664
	ds_write2_b64 v102, v[64:65], v[68:69] offset1:104
	ds_write_b64 v102, v[42:43] offset:1664
	;; [unrolled: 2-line block ×3, first 2 shown]
	ds_write2_b64 v99, v[30:31], v[72:73] offset0:112 offset1:216
	ds_write_b64 v101, v[46:47] offset:6656
	s_waitcnt lgkmcnt(0)
	s_barrier
	buffer_gl0_inv
	s_and_saveexec_b32 s6, vcc_lo
	s_cbranch_execz .LBB0_22
; %bb.21:
	v_mov_b32_e32 v57, v13
	v_add_nc_u32_e32 v62, 0xc00, v90
	v_add_nc_u32_e32 v66, 0x1800, v90
	;; [unrolled: 1-line block ×3, first 2 shown]
	v_lshrrev_b32_e32 v100, 3, v82
	v_lshlrev_b64 v[28:29], 4, v[56:57]
	v_mov_b32_e32 v56, v13
	v_lshrrev_b32_e32 v101, 3, v83
	v_mad_u64_u32 v[98:99], null, s2, v88, 0
	v_mul_hi_u32 v104, 0x1a41a41b, v100
	v_add_co_u32 v12, vcc_lo, s8, v28
	v_add_co_ci_u32_e32 v31, vcc_lo, s9, v29, vcc_lo
	v_lshlrev_b64 v[28:29], 4, v[55:56]
	v_add_co_u32 v32, vcc_lo, 0x1360, v12
	v_add_co_ci_u32_e32 v33, vcc_lo, 0, v31, vcc_lo
	v_add_co_u32 v30, vcc_lo, 0x1000, v12
	v_add_co_ci_u32_e32 v31, vcc_lo, 0, v31, vcc_lo
	;; [unrolled: 2-line block ×3, first 2 shown]
	v_mov_b32_e32 v55, v13
	v_add_co_u32 v48, vcc_lo, 0x1360, v12
	v_add_co_ci_u32_e32 v49, vcc_lo, 0, v36, vcc_lo
	v_add_co_u32 v12, vcc_lo, 0x1000, v12
	v_add_co_ci_u32_e32 v13, vcc_lo, 0, v36, vcc_lo
	v_lshlrev_b64 v[36:37], 4, v[54:55]
	v_add_co_u32 v40, vcc_lo, 0x1360, v26
	v_add_co_ci_u32_e32 v41, vcc_lo, 0, v27, vcc_lo
	v_add_co_u32 v26, vcc_lo, 0x1000, v26
	v_add_co_ci_u32_e32 v27, vcc_lo, 0, v27, vcc_lo
	;; [unrolled: 2-line block ×3, first 2 shown]
	s_clause 0x3
	global_load_dwordx4 v[28:31], v[30:31], off offset:864
	global_load_dwordx4 v[32:35], v[32:33], off offset:16
	;; [unrolled: 1-line block ×4, first 2 shown]
	v_add_co_u32 v26, vcc_lo, 0x1000, v44
	v_add_co_ci_u32_e32 v27, vcc_lo, 0, v45, vcc_lo
	v_add_co_u32 v58, vcc_lo, 0x1360, v44
	v_add_co_ci_u32_e32 v59, vcc_lo, 0, v45, vcc_lo
	s_clause 0x3
	global_load_dwordx4 v[44:47], v[12:13], off offset:864
	global_load_dwordx4 v[48:51], v[48:49], off offset:16
	;; [unrolled: 1-line block ×4, first 2 shown]
	ds_read_b64 v[12:13], v96
	ds_read_b64 v[26:27], v93
	;; [unrolled: 1-line block ×6, first 2 shown]
	v_mad_u64_u32 v[90:91], null, s2, v84, 0
	v_mad_u64_u32 v[92:93], null, s2, v89, 0
	v_add_co_u32 v124, vcc_lo, s12, v52
	v_add_co_ci_u32_e32 v125, vcc_lo, s13, v53, vcc_lo
	v_mad_u64_u32 v[52:53], null, s2, v87, 0
	v_mad_u64_u32 v[94:95], null, s2, v85, 0
	;; [unrolled: 1-line block ×3, first 2 shown]
	v_mul_hi_u32 v105, 0x1a41a41b, v101
	v_mad_u64_u32 v[100:101], null, s3, v84, v[91:92]
	ds_read2_b64 v[62:65], v62 offset0:84 offset1:162
	ds_read2_b64 v[66:69], v66 offset0:12 offset1:90
	;; [unrolled: 1-line block ×3, first 2 shown]
	v_mad_u64_u32 v[84:85], null, s3, v85, v[95:96]
	v_mad_u64_u32 v[85:86], null, s3, v86, v[97:98]
	v_mov_b32_e32 v91, v100
	v_mov_b32_e32 v95, v84
	;; [unrolled: 1-line block ×3, first 2 shown]
	s_waitcnt vmcnt(7)
	v_mul_f64 v[112:113], v[2:3], v[30:31]
	s_waitcnt vmcnt(6)
	v_mul_f64 v[114:115], v[10:11], v[34:35]
	s_waitcnt lgkmcnt(1)
	v_mul_f64 v[34:35], v[68:69], v[34:35]
	v_mul_f64 v[30:31], v[64:65], v[30:31]
	s_waitcnt vmcnt(3)
	v_mul_f64 v[116:117], v[0:1], v[46:47]
	s_waitcnt vmcnt(2)
	;; [unrolled: 2-line block ×3, first 2 shown]
	v_mad_u64_u32 v[101:102], null, s3, v87, v[53:54]
	v_lshrrev_b32_e32 v53, 2, v104
	v_mad_u64_u32 v[102:103], null, s3, v89, v[93:94]
	v_lshrrev_b32_e32 v89, 2, v105
	v_mad_u64_u32 v[86:87], null, s3, v88, v[99:100]
	v_mad_u32_u24 v104, 0x270, v53, v82
	v_mov_b32_e32 v53, v101
	v_mad_u32_u24 v106, 0x270, v89, v83
	v_mov_b32_e32 v93, v102
	v_mul_f64 v[120:121], v[22:23], v[56:57]
	v_add_nc_u32_e32 v107, 0x138, v104
	v_mov_b32_e32 v99, v86
	v_add_nc_u32_e32 v108, 0x270, v104
	v_add_nc_u32_e32 v109, 0x138, v106
	;; [unrolled: 1-line block ×3, first 2 shown]
	v_lshlrev_b64 v[86:87], 4, v[90:91]
	v_mad_u64_u32 v[82:83], null, s2, v104, 0
	v_mad_u64_u32 v[84:85], null, s2, v106, 0
	v_lshlrev_b64 v[88:89], 4, v[92:93]
	v_lshlrev_b64 v[92:93], 4, v[96:97]
	v_mad_u64_u32 v[96:97], null, s2, v107, 0
	v_lshlrev_b64 v[90:91], 4, v[94:95]
	v_lshlrev_b64 v[94:95], 4, v[98:99]
	v_mad_u64_u32 v[98:99], null, s2, v108, 0
	v_mad_u64_u32 v[100:101], null, s2, v109, 0
	;; [unrolled: 1-line block ×3, first 2 shown]
	v_add_co_u32 v86, vcc_lo, v124, v86
	v_mad_u64_u32 v[104:105], null, s3, v104, v[83:84]
	v_mov_b32_e32 v83, v97
	v_mov_b32_e32 v97, v99
	v_mad_u64_u32 v[105:106], null, s3, v106, v[85:86]
	v_mov_b32_e32 v85, v101
	v_mov_b32_e32 v99, v103
	v_mad_u64_u32 v[106:107], null, s3, v107, v[83:84]
	v_mad_u64_u32 v[107:108], null, s3, v108, v[97:98]
	;; [unrolled: 1-line block ×4, first 2 shown]
	v_mov_b32_e32 v83, v104
	v_mov_b32_e32 v85, v105
	v_mul_f64 v[104:105], v[24:25], v[38:39]
	v_mul_f64 v[110:111], v[4:5], v[42:43]
	;; [unrolled: 1-line block ×3, first 2 shown]
	s_waitcnt lgkmcnt(0)
	v_mul_f64 v[42:43], v[70:71], v[42:43]
	s_waitcnt vmcnt(0)
	v_mul_f64 v[122:123], v[6:7], v[60:61]
	v_mul_f64 v[56:57], v[78:79], v[56:57]
	v_mul_f64 v[60:61], v[72:73], v[60:61]
	v_mul_f64 v[46:47], v[62:63], v[46:47]
	v_mul_f64 v[50:51], v[66:67], v[50:51]
	v_lshlrev_b64 v[52:53], 4, v[52:53]
	v_fma_f64 v[10:11], v[10:11], v[32:33], v[34:35]
	v_fma_f64 v[2:3], v[2:3], v[28:29], v[30:31]
	v_fma_f64 v[30:31], v[66:67], v[48:49], -v[118:119]
	v_add_co_ci_u32_e32 v87, vcc_lo, v125, v87, vcc_lo
	v_add_co_u32 v52, vcc_lo, v124, v52
	v_add_co_ci_u32_e32 v53, vcc_lo, v125, v53, vcc_lo
	v_add_co_u32 v88, vcc_lo, v124, v88
	v_add_co_ci_u32_e32 v89, vcc_lo, v125, v89, vcc_lo
	v_fma_f64 v[80:81], v[80:81], v[36:37], -v[104:105]
	v_fma_f64 v[70:71], v[70:71], v[40:41], -v[110:111]
	v_fma_f64 v[24:25], v[24:25], v[36:37], v[38:39]
	v_fma_f64 v[4:5], v[4:5], v[40:41], v[42:43]
	v_fma_f64 v[38:39], v[68:69], v[32:33], -v[114:115]
	v_fma_f64 v[32:33], v[78:79], v[54:55], -v[120:121]
	;; [unrolled: 1-line block ×3, first 2 shown]
	v_fma_f64 v[22:23], v[22:23], v[54:55], v[56:57]
	v_fma_f64 v[40:41], v[6:7], v[58:59], v[60:61]
	v_fma_f64 v[36:37], v[64:65], v[28:29], -v[112:113]
	v_fma_f64 v[28:29], v[62:63], v[44:45], -v[116:117]
	v_fma_f64 v[0:1], v[0:1], v[44:45], v[46:47]
	v_fma_f64 v[8:9], v[8:9], v[48:49], v[50:51]
	v_add_co_u32 v90, vcc_lo, v124, v90
	v_add_co_ci_u32_e32 v91, vcc_lo, v125, v91, vcc_lo
	v_add_co_u32 v92, vcc_lo, v124, v92
	v_lshlrev_b64 v[82:83], 4, v[82:83]
	v_add_co_ci_u32_e32 v93, vcc_lo, v125, v93, vcc_lo
	v_add_co_u32 v94, vcc_lo, v124, v94
	v_lshlrev_b64 v[84:85], 4, v[84:85]
	v_add_co_ci_u32_e32 v95, vcc_lo, v125, v95, vcc_lo
	v_add_f64 v[42:43], v[80:81], v[70:71]
	v_add_f64 v[46:47], v[24:25], v[4:5]
	v_add_co_u32 v48, vcc_lo, v124, v82
	v_add_co_ci_u32_e32 v49, vcc_lo, v125, v83, vcc_lo
	v_add_f64 v[66:67], v[32:33], v[34:35]
	v_add_f64 v[68:69], v[22:23], v[40:41]
	v_add_co_u32 v50, vcc_lo, v124, v84
	v_add_co_ci_u32_e32 v51, vcc_lo, v125, v85, vcc_lo
	v_add_f64 v[64:65], v[28:29], v[30:31]
	v_add_f64 v[84:85], v[0:1], v[8:9]
	;; [unrolled: 1-line block ×4, first 2 shown]
	v_mov_b32_e32 v97, v106
	v_add_f64 v[44:45], v[24:25], -v[4:5]
	v_add_f64 v[72:73], v[76:77], v[80:81]
	v_add_f64 v[24:25], v[18:19], v[24:25]
	v_mov_b32_e32 v101, v108
	v_mov_b32_e32 v103, v109
	v_add_f64 v[78:79], v[80:81], -v[70:71]
	v_add_f64 v[104:105], v[22:23], -v[40:41]
	v_add_f64 v[22:23], v[16:17], v[22:23]
	v_fma_f64 v[42:43], v[42:43], -0.5, v[76:77]
	v_fma_f64 v[46:47], v[46:47], -0.5, v[18:19]
	v_mov_b32_e32 v99, v107
	v_add_f64 v[106:107], v[74:75], v[32:33]
	v_add_f64 v[32:33], v[32:33], -v[34:35]
	v_fma_f64 v[66:67], v[66:67], -0.5, v[74:75]
	v_fma_f64 v[68:69], v[68:69], -0.5, v[16:17]
	v_lshlrev_b64 v[6:7], 4, v[96:97]
	v_add_f64 v[82:83], v[12:13], v[36:37]
	v_add_f64 v[96:97], v[36:37], -v[38:39]
	v_add_f64 v[36:37], v[20:21], v[2:3]
	v_lshlrev_b64 v[56:57], 4, v[100:101]
	v_lshlrev_b64 v[58:59], 4, v[102:103]
	v_add_f64 v[100:101], v[26:27], v[28:29]
	v_add_f64 v[102:103], v[14:15], v[0:1]
	v_lshlrev_b64 v[54:55], 4, v[98:99]
	v_add_f64 v[98:99], v[0:1], -v[8:9]
	v_fma_f64 v[64:65], v[64:65], -0.5, v[26:27]
	v_add_f64 v[28:29], v[28:29], -v[30:31]
	v_fma_f64 v[76:77], v[84:85], -0.5, v[14:15]
	;; [unrolled: 2-line block ×3, first 2 shown]
	v_fma_f64 v[62:63], v[62:63], -0.5, v[20:21]
	v_add_f64 v[2:3], v[72:73], v[70:71]
	v_add_f64 v[0:1], v[24:25], v[4:5]
	;; [unrolled: 1-line block ×3, first 2 shown]
	v_fma_f64 v[22:23], v[44:45], s[0:1], v[42:43]
	v_fma_f64 v[20:21], v[78:79], s[4:5], v[46:47]
	v_fma_f64 v[18:19], v[44:45], s[4:5], v[42:43]
	v_fma_f64 v[16:17], v[78:79], s[0:1], v[46:47]
	v_add_co_u32 v74, vcc_lo, v124, v6
	v_add_f64 v[14:15], v[106:107], v[34:35]
	v_fma_f64 v[42:43], v[104:105], s[0:1], v[66:67]
	v_fma_f64 v[40:41], v[32:33], s[4:5], v[68:69]
	v_add_co_ci_u32_e32 v75, vcc_lo, v125, v7, vcc_lo
	v_add_f64 v[6:7], v[82:83], v[38:39]
	v_add_f64 v[4:5], v[36:37], v[10:11]
	v_fma_f64 v[38:39], v[104:105], s[4:5], v[66:67]
	v_fma_f64 v[36:37], v[32:33], s[0:1], v[68:69]
	v_add_f64 v[10:11], v[100:101], v[30:31]
	v_add_f64 v[8:9], v[102:103], v[8:9]
	v_fma_f64 v[46:47], v[98:99], s[0:1], v[64:65]
	v_fma_f64 v[44:45], v[28:29], s[4:5], v[76:77]
	;; [unrolled: 1-line block ×8, first 2 shown]
	v_add_co_u32 v54, vcc_lo, v124, v54
	v_add_co_ci_u32_e32 v55, vcc_lo, v125, v55, vcc_lo
	v_add_co_u32 v56, vcc_lo, v124, v56
	v_add_co_ci_u32_e32 v57, vcc_lo, v125, v57, vcc_lo
	;; [unrolled: 2-line block ×3, first 2 shown]
	global_store_dwordx4 v[86:87], v[0:3], off
	global_store_dwordx4 v[52:53], v[20:23], off
	;; [unrolled: 1-line block ×12, first 2 shown]
.LBB0_22:
	s_endpgm
	.section	.rodata,"a",@progbits
	.p2align	6, 0x0
	.amdhsa_kernel fft_rtc_back_len936_factors_2_2_13_2_3_3_wgs_234_tpt_78_halfLds_dp_ip_CI_sbrr_dirReg
		.amdhsa_group_segment_fixed_size 0
		.amdhsa_private_segment_fixed_size 0
		.amdhsa_kernarg_size 88
		.amdhsa_user_sgpr_count 6
		.amdhsa_user_sgpr_private_segment_buffer 1
		.amdhsa_user_sgpr_dispatch_ptr 0
		.amdhsa_user_sgpr_queue_ptr 0
		.amdhsa_user_sgpr_kernarg_segment_ptr 1
		.amdhsa_user_sgpr_dispatch_id 0
		.amdhsa_user_sgpr_flat_scratch_init 0
		.amdhsa_user_sgpr_private_segment_size 0
		.amdhsa_wavefront_size32 1
		.amdhsa_uses_dynamic_stack 0
		.amdhsa_system_sgpr_private_segment_wavefront_offset 0
		.amdhsa_system_sgpr_workgroup_id_x 1
		.amdhsa_system_sgpr_workgroup_id_y 0
		.amdhsa_system_sgpr_workgroup_id_z 0
		.amdhsa_system_sgpr_workgroup_info 0
		.amdhsa_system_vgpr_workitem_id 0
		.amdhsa_next_free_vgpr 189
		.amdhsa_next_free_sgpr 44
		.amdhsa_reserve_vcc 1
		.amdhsa_reserve_flat_scratch 0
		.amdhsa_float_round_mode_32 0
		.amdhsa_float_round_mode_16_64 0
		.amdhsa_float_denorm_mode_32 3
		.amdhsa_float_denorm_mode_16_64 3
		.amdhsa_dx10_clamp 1
		.amdhsa_ieee_mode 1
		.amdhsa_fp16_overflow 0
		.amdhsa_workgroup_processor_mode 1
		.amdhsa_memory_ordered 1
		.amdhsa_forward_progress 0
		.amdhsa_shared_vgpr_count 0
		.amdhsa_exception_fp_ieee_invalid_op 0
		.amdhsa_exception_fp_denorm_src 0
		.amdhsa_exception_fp_ieee_div_zero 0
		.amdhsa_exception_fp_ieee_overflow 0
		.amdhsa_exception_fp_ieee_underflow 0
		.amdhsa_exception_fp_ieee_inexact 0
		.amdhsa_exception_int_div_zero 0
	.end_amdhsa_kernel
	.text
.Lfunc_end0:
	.size	fft_rtc_back_len936_factors_2_2_13_2_3_3_wgs_234_tpt_78_halfLds_dp_ip_CI_sbrr_dirReg, .Lfunc_end0-fft_rtc_back_len936_factors_2_2_13_2_3_3_wgs_234_tpt_78_halfLds_dp_ip_CI_sbrr_dirReg
                                        ; -- End function
	.section	.AMDGPU.csdata,"",@progbits
; Kernel info:
; codeLenInByte = 12676
; NumSgprs: 46
; NumVgprs: 189
; ScratchSize: 0
; MemoryBound: 1
; FloatMode: 240
; IeeeMode: 1
; LDSByteSize: 0 bytes/workgroup (compile time only)
; SGPRBlocks: 5
; VGPRBlocks: 23
; NumSGPRsForWavesPerEU: 46
; NumVGPRsForWavesPerEU: 189
; Occupancy: 5
; WaveLimiterHint : 1
; COMPUTE_PGM_RSRC2:SCRATCH_EN: 0
; COMPUTE_PGM_RSRC2:USER_SGPR: 6
; COMPUTE_PGM_RSRC2:TRAP_HANDLER: 0
; COMPUTE_PGM_RSRC2:TGID_X_EN: 1
; COMPUTE_PGM_RSRC2:TGID_Y_EN: 0
; COMPUTE_PGM_RSRC2:TGID_Z_EN: 0
; COMPUTE_PGM_RSRC2:TIDIG_COMP_CNT: 0
	.text
	.p2alignl 6, 3214868480
	.fill 48, 4, 3214868480
	.type	__hip_cuid_e3629fc2e79f7ea2,@object ; @__hip_cuid_e3629fc2e79f7ea2
	.section	.bss,"aw",@nobits
	.globl	__hip_cuid_e3629fc2e79f7ea2
__hip_cuid_e3629fc2e79f7ea2:
	.byte	0                               ; 0x0
	.size	__hip_cuid_e3629fc2e79f7ea2, 1

	.ident	"AMD clang version 19.0.0git (https://github.com/RadeonOpenCompute/llvm-project roc-6.4.0 25133 c7fe45cf4b819c5991fe208aaa96edf142730f1d)"
	.section	".note.GNU-stack","",@progbits
	.addrsig
	.addrsig_sym __hip_cuid_e3629fc2e79f7ea2
	.amdgpu_metadata
---
amdhsa.kernels:
  - .args:
      - .actual_access:  read_only
        .address_space:  global
        .offset:         0
        .size:           8
        .value_kind:     global_buffer
      - .offset:         8
        .size:           8
        .value_kind:     by_value
      - .actual_access:  read_only
        .address_space:  global
        .offset:         16
        .size:           8
        .value_kind:     global_buffer
      - .actual_access:  read_only
        .address_space:  global
        .offset:         24
        .size:           8
        .value_kind:     global_buffer
      - .offset:         32
        .size:           8
        .value_kind:     by_value
      - .actual_access:  read_only
        .address_space:  global
        .offset:         40
        .size:           8
        .value_kind:     global_buffer
      - .actual_access:  read_only
        .address_space:  global
        .offset:         48
        .size:           8
        .value_kind:     global_buffer
      - .offset:         56
        .size:           4
        .value_kind:     by_value
      - .actual_access:  read_only
        .address_space:  global
        .offset:         64
        .size:           8
        .value_kind:     global_buffer
      - .actual_access:  read_only
        .address_space:  global
        .offset:         72
        .size:           8
        .value_kind:     global_buffer
      - .address_space:  global
        .offset:         80
        .size:           8
        .value_kind:     global_buffer
    .group_segment_fixed_size: 0
    .kernarg_segment_align: 8
    .kernarg_segment_size: 88
    .language:       OpenCL C
    .language_version:
      - 2
      - 0
    .max_flat_workgroup_size: 234
    .name:           fft_rtc_back_len936_factors_2_2_13_2_3_3_wgs_234_tpt_78_halfLds_dp_ip_CI_sbrr_dirReg
    .private_segment_fixed_size: 0
    .sgpr_count:     46
    .sgpr_spill_count: 0
    .symbol:         fft_rtc_back_len936_factors_2_2_13_2_3_3_wgs_234_tpt_78_halfLds_dp_ip_CI_sbrr_dirReg.kd
    .uniform_work_group_size: 1
    .uses_dynamic_stack: false
    .vgpr_count:     189
    .vgpr_spill_count: 0
    .wavefront_size: 32
    .workgroup_processor_mode: 1
amdhsa.target:   amdgcn-amd-amdhsa--gfx1030
amdhsa.version:
  - 1
  - 2
...

	.end_amdgpu_metadata
